;; amdgpu-corpus repo=ROCm/Tensile kind=harvested arch=n/a opt=n/a

/******************************************/
/* Function Prefix                        */
/******************************************/



/******************************************/
/* Begin Kernel                           */
/******************************************/

// Component.Signature.SignatureDefault
.amdgcn_target "amdgcn-amd-amdhsa--gfx908"
.text
.protected Cijk_Ailk_Bjlk_I8II_BH_MT256x256x32_MI32x32x8x1_SE_1LDSB0_APM1_AF0EM8_AF1EM1_AMAS0_ASE_ASAE01_ASCE01_ASEM1_BL1_DTLA0_DTLB0_DVO0_EPS1_FL0_GLVWA8_GLVWB8_GRVW8_GSU1_GSUASB_ISA908_IU1_K1_KLA_LBSPPA0_LBSPPB0_LPA0_LPB0_LDL1_LRVW4_LDW0_FMA_MDA2_MMFGLC_NTC0_NTD0_NEPBS0_NLCA1_NLCB1_ONLL1_OPLV0_PK0_PAP0_PGR1_PLR1_SIA3_SS0_SU0_SUM0_SUS0_SPO0_SRVW4_SSO0_SVW4_SNLL0_TT2_256_TLDS0_UMLDSA0_UMLDSB0_USFGROn1_VAW1_VSn1_VW1_VWB1_WSGRA1_WSGRB1_WG128_2_1_WGM1
.globl Cijk_Ailk_Bjlk_I8II_BH_MT256x256x32_MI32x32x8x1_SE_1LDSB0_APM1_AF0EM8_AF1EM1_AMAS0_ASE_ASAE01_ASCE01_ASEM1_BL1_DTLA0_DTLB0_DVO0_EPS1_FL0_GLVWA8_GLVWB8_GRVW8_GSU1_GSUASB_ISA908_IU1_K1_KLA_LBSPPA0_LBSPPB0_LPA0_LPB0_LDL1_LRVW4_LDW0_FMA_MDA2_MMFGLC_NTC0_NTD0_NEPBS0_NLCA1_NLCB1_ONLL1_OPLV0_PK0_PAP0_PGR1_PLR1_SIA3_SS0_SU0_SUM0_SUS0_SPO0_SRVW4_SSO0_SVW4_SNLL0_TT2_256_TLDS0_UMLDSA0_UMLDSB0_USFGROn1_VAW1_VSn1_VW1_VWB1_WSGRA1_WSGRB1_WG128_2_1_WGM1
.p2align 8
.type Cijk_Ailk_Bjlk_I8II_BH_MT256x256x32_MI32x32x8x1_SE_1LDSB0_APM1_AF0EM8_AF1EM1_AMAS0_ASE_ASAE01_ASCE01_ASEM1_BL1_DTLA0_DTLB0_DVO0_EPS1_FL0_GLVWA8_GLVWB8_GRVW8_GSU1_GSUASB_ISA908_IU1_K1_KLA_LBSPPA0_LBSPPB0_LPA0_LPB0_LDL1_LRVW4_LDW0_FMA_MDA2_MMFGLC_NTC0_NTD0_NEPBS0_NLCA1_NLCB1_ONLL1_OPLV0_PK0_PAP0_PGR1_PLR1_SIA3_SS0_SU0_SUM0_SUS0_SPO0_SRVW4_SSO0_SVW4_SNLL0_TT2_256_TLDS0_UMLDSA0_UMLDSB0_USFGROn1_VAW1_VSn1_VW1_VWB1_WSGRA1_WSGRB1_WG128_2_1_WGM1,@function
.section .rodata,#alloc
.p2align 6
.amdhsa_kernel Cijk_Ailk_Bjlk_I8II_BH_MT256x256x32_MI32x32x8x1_SE_1LDSB0_APM1_AF0EM8_AF1EM1_AMAS0_ASE_ASAE01_ASCE01_ASEM1_BL1_DTLA0_DTLB0_DVO0_EPS1_FL0_GLVWA8_GLVWB8_GRVW8_GSU1_GSUASB_ISA908_IU1_K1_KLA_LBSPPA0_LBSPPB0_LPA0_LPB0_LDL1_LRVW4_LDW0_FMA_MDA2_MMFGLC_NTC0_NTD0_NEPBS0_NLCA1_NLCB1_ONLL1_OPLV0_PK0_PAP0_PGR1_PLR1_SIA3_SS0_SU0_SUM0_SUS0_SPO0_SRVW4_SSO0_SVW4_SNLL0_TT2_256_TLDS0_UMLDSA0_UMLDSB0_USFGROn1_VAW1_VSn1_VW1_VWB1_WSGRA1_WSGRB1_WG128_2_1_WGM1
  .amdhsa_user_sgpr_kernarg_segment_ptr 1
  .amdhsa_user_sgpr_count 2
  .amdhsa_next_free_vgpr 256 // vgprs
  .amdhsa_next_free_sgpr 58 // sgprs
  .amdhsa_group_segment_fixed_size 33280 // lds bytes
  .amdhsa_private_segment_fixed_size 0
  .amdhsa_system_sgpr_workgroup_id_x 1
  .amdhsa_system_sgpr_workgroup_id_y 1
  .amdhsa_system_sgpr_workgroup_id_z 1
  .amdhsa_system_vgpr_workitem_id 0
  .amdhsa_float_denorm_mode_32 3
  .amdhsa_float_denorm_mode_16_64 3
.end_amdhsa_kernel
.text

/******************************************/
/* Optimizations and Config:              */
/******************************************/
/* ThreadTile= 32 x 8 */
/* SubGroup= 8 x 32 */
/* VectorWidthA=1 */
/* VectorWidthB=1 */
/* GlobalLoadVectorWidthA=8, GlobalLoadVectorWidthB=8 */
/* DirectToLdsA=False */
/* DirectToLdsB=False */
/* UseSgprForGRO=False */
.amdgpu_metadata
---
amdhsa.version:
  - 1
  - 1
amdhsa.target: amdgcn-amd-amdhsa--gfx908
amdhsa.kernels:
  - .name: Cijk_Ailk_Bjlk_I8II_BH_MT256x256x32_MI32x32x8x1_SE_1LDSB0_APM1_AF0EM8_AF1EM1_AMAS0_ASE_ASAE01_ASCE01_ASEM1_BL1_DTLA0_DTLB0_DVO0_EPS1_FL0_GLVWA8_GLVWB8_GRVW8_GSU1_GSUASB_ISA908_IU1_K1_KLA_LBSPPA0_LBSPPB0_LPA0_LPB0_LDL1_LRVW4_LDW0_FMA_MDA2_MMFGLC_NTC0_NTD0_NEPBS0_NLCA1_NLCB1_ONLL1_OPLV0_PK0_PAP0_PGR1_PLR1_SIA3_SS0_SU0_SUM0_SUS0_SPO0_SRVW4_SSO0_SVW4_SNLL0_TT2_256_TLDS0_UMLDSA0_UMLDSB0_USFGROn1_VAW1_VSn1_VW1_VWB1_WSGRA1_WSGRB1_WG128_2_1_WGM1
    .symbol: 'Cijk_Ailk_Bjlk_I8II_BH_MT256x256x32_MI32x32x8x1_SE_1LDSB0_APM1_AF0EM8_AF1EM1_AMAS0_ASE_ASAE01_ASCE01_ASEM1_BL1_DTLA0_DTLB0_DVO0_EPS1_FL0_GLVWA8_GLVWB8_GRVW8_GSU1_GSUASB_ISA908_IU1_K1_KLA_LBSPPA0_LBSPPB0_LPA0_LPB0_LDL1_LRVW4_LDW0_FMA_MDA2_MMFGLC_NTC0_NTD0_NEPBS0_NLCA1_NLCB1_ONLL1_OPLV0_PK0_PAP0_PGR1_PLR1_SIA3_SS0_SU0_SUM0_SUS0_SPO0_SRVW4_SSO0_SVW4_SNLL0_TT2_256_TLDS0_UMLDSA0_UMLDSB0_USFGROn1_VAW1_VSn1_VW1_VWB1_WSGRA1_WSGRB1_WG128_2_1_WGM1.kd'
    .language:                   OpenCL C
    .language_version:
      - 2
      - 0
    .args:
      - .name:            Tensor2dSizeA
        .size:            8
        .offset:          0
        .value_kind:      by_value
        .value_type:      u64
      - .name:            Tensor2dSizeB
        .size:            8
        .offset:          8
        .value_kind:      by_value
        .value_type:      u64
      - .name:            AddressD
        .size:            8
        .offset:          16
        .value_kind:      by_value
        .value_type:      u64
      - .name:            AddressC
        .size:            8
        .offset:          24
        .value_kind:      by_value
        .value_type:      u64
      - .name:            AddressA
        .size:            8
        .offset:          32
        .value_kind:      by_value
        .value_type:      u64
      - .name:            AddressB
        .size:            8
        .offset:          40
        .value_kind:      by_value
        .value_type:      u64
      - .name:            Alpha
        .size:            4
        .offset:          48
        .value_kind:      by_value
        .value_type:      u32
      - .name:            Beta
        .size:            4
        .offset:          52
        .value_kind:      by_value
        .value_type:      u32
      - .name:            StridesD
        .size:            8
        .offset:          56
        .value_kind:      by_value
        .value_type:      u64
      - .name:            StridesC
        .size:            8
        .offset:          64
        .value_kind:      by_value
        .value_type:      u64
      - .name:            StridesA
        .size:            8
        .offset:          72
        .value_kind:      by_value
        .value_type:      u64
      - .name:            StridesB
        .size:            8
        .offset:          80
        .value_kind:      by_value
        .value_type:      u64
      - .name:            SizesFree
        .size:            12
        .offset:          88
        .value_kind:      by_value
        .value_type:      u96
      - .name:            SizesSum
        .size:            4
        .offset:          100
        .value_kind:      by_value
        .value_type:      u32
      - .name:            NumWorkGroups0
        .size:            4
        .offset:          104
        .value_kind:      by_value
        .value_type:      u32
      - .name:            NumWorkGroups1
        .size:            4
        .offset:          108
        .value_kind:      by_value
        .value_type:      u32
    .group_segment_fixed_size:   33280
    .kernarg_segment_align:      8
    .kernarg_segment_size:       112
    .max_flat_workgroup_size:    256
    .private_segment_fixed_size: 0
    .sgpr_count:                 58
    .sgpr_spill_count:           0
    .vgpr_count:                 256
    .vgpr_spill_count:           0
    .wavefront_size:             64
...
.end_amdgpu_metadata
Cijk_Ailk_Bjlk_I8II_BH_MT256x256x32_MI32x32x8x1_SE_1LDSB0_APM1_AF0EM8_AF1EM1_AMAS0_ASE_ASAE01_ASCE01_ASEM1_BL1_DTLA0_DTLB0_DVO0_EPS1_FL0_GLVWA8_GLVWB8_GRVW8_GSU1_GSUASB_ISA908_IU1_K1_KLA_LBSPPA0_LBSPPB0_LPA0_LPB0_LDL1_LRVW4_LDW0_FMA_MDA2_MMFGLC_NTC0_NTD0_NEPBS0_NLCA1_NLCB1_ONLL1_OPLV0_PK0_PAP0_PGR1_PLR1_SIA3_SS0_SU0_SUM0_SUS0_SPO0_SRVW4_SSO0_SVW4_SNLL0_TT2_256_TLDS0_UMLDSA0_UMLDSB0_USFGROn1_VAW1_VSn1_VW1_VWB1_WSGRA1_WSGRB1_WG128_2_1_WGM1:

/******************************************/
/* Asm syntax workarounds                 */
/******************************************/
.macro _v_add_co_u32 dst:req, cc:req, src0:req, src1:req, dpp=
   v_add_co_u32 \dst, \cc, \src0, \src1 \dpp
.endm

.macro _v_add_u32 dst:req, src0:req, src1:req, dpp=
   v_add_u32 \dst, \src0, \src1 \dpp
.endm

.macro _v_add_i32 dst:req, src0:req, src1:req, dpp=
   v_add_i32 \dst, \src0, \src1 \dpp
.endm

.macro _v_addc_co_u32 dst:req, ccOut:req, src0:req, ccIn:req, src1:req, dpp=
   v_addc_co_u32 \dst, \ccOut, \src0, \ccIn, \src1 \dpp
.endm

.macro _v_sub_co_u32 dst:req, cc:req, src0:req, src1:req, dpp=
   v_sub_co_u32 \dst, \cc, \src0, \src1 \dpp
.endm

.macro _v_sub_u32 dst:req, src0:req, src1:req, dpp=
   v_sub_u32 \dst, \src0, \src1 \dpp
.endm

.macro _v_sub_i32 dst:req, src0:req, src1:req, dpp=
   v_sub_i32 \dst, \src0, \src1 \dpp
.endm

.macro _v_add_lshl_u32 dst:req, src0:req, src1:req, shiftCnt:req
    v_add_lshl_u32 \dst, \src0, \src1, \shiftCnt
.endm

.macro _v_lshl_add_u32 dst:req, src0:req, src1:req, shiftCnt:req
    v_lshl_add_u32 \dst, \src0, \src1, \shiftCnt
.endm

.macro _v_lshl_or_b32 dst:req, src0:req, shiftCnt:req, src1:req
    v_lshl_or_b32 \dst, \src0, \shiftCnt, \src1
.endm

.macro _v_dot2acc_f32_f16 dst, src0, src1
v_dot2c_f32_f16 \dst, \src0, \src1
.endm

.macro _v_cmpx_lt_i16 dst, src0, src1=
   v_cmpx_lt_i16 \dst, \src0, \src1 
.endm

.macro _v_cmpx_lt_i32 dst, src0, src1=
   v_cmpx_lt_i32 \dst, \src0, \src1 
.endm

.macro _v_cmpx_lt_i64 dst, src0, src1=
   v_cmpx_lt_i64 \dst, \src0, \src1 
.endm

.macro _v_cmpx_lt_u16 dst, src0, src1=
   v_cmpx_lt_u16 \dst, \src0, \src1 
.endm

.macro _v_cmpx_lt_u32 dst, src0, src1=
   v_cmpx_lt_u32 \dst, \src0, \src1 
.endm

.macro _v_cmpx_lt_u64 dst, src0, src1=
   v_cmpx_lt_u64 \dst, \src0, \src1 
.endm

.macro _v_cmpx_eq_i16 dst, src0, src1=
   v_cmpx_eq_i16 \dst, \src0, \src1 
.endm

.macro _v_cmpx_eq_i32 dst, src0, src1=
   v_cmpx_eq_i32 \dst, \src0, \src1 
.endm

.macro _v_cmpx_eq_i64 dst, src0, src1=
   v_cmpx_eq_i64 \dst, \src0, \src1 
.endm

.macro _v_cmpx_eq_u16 dst, src0, src1=
   v_cmpx_eq_u16 \dst, \src0, \src1 
.endm

.macro _v_cmpx_eq_u32 dst, src0, src1=
   v_cmpx_eq_u32 \dst, \src0, \src1 
.endm

.macro _v_cmpx_eq_u64 dst, src0, src1=
   v_cmpx_eq_u64 \dst, \src0, \src1 
.endm

.macro _v_cmpx_le_i16 dst, src0, src1=
   v_cmpx_le_i16 \dst, \src0, \src1 
.endm

.macro _v_cmpx_le_i32 dst, src0, src1=
   v_cmpx_le_i32 \dst, \src0, \src1 
.endm

.macro _v_cmpx_le_i64 dst, src0, src1=
   v_cmpx_le_i64 \dst, \src0, \src1 
.endm

.macro _v_cmpx_le_u16 dst, src0, src1=
   v_cmpx_le_u16 \dst, \src0, \src1 
.endm

.macro _v_cmpx_le_u32 dst, src0, src1=
   v_cmpx_le_u32 \dst, \src0, \src1 
.endm

.macro _v_cmpx_le_u64 dst, src0, src1=
   v_cmpx_le_u64 \dst, \src0, \src1 
.endm

.macro _v_cmpx_gt_i16 dst, src0, src1=
   v_cmpx_gt_i16 \dst, \src0, \src1 
.endm

.macro _v_cmpx_gt_i32 dst, src0, src1=
   v_cmpx_gt_i32 \dst, \src0, \src1 
.endm

.macro _v_cmpx_gt_i64 dst, src0, src1=
   v_cmpx_gt_i64 \dst, \src0, \src1 
.endm

.macro _v_cmpx_gt_u16 dst, src0, src1=
   v_cmpx_gt_u16 \dst, \src0, \src1 
.endm

.macro _v_cmpx_gt_u32 dst, src0, src1=
   v_cmpx_gt_u32 \dst, \src0, \src1 
.endm

.macro _v_cmpx_gt_u64 dst, src0, src1=
   v_cmpx_gt_u64 \dst, \src0, \src1 
.endm

.macro _v_cmpx_ne_i16 dst, src0, src1=
   v_cmpx_ne_i16 \dst, \src0, \src1 
.endm

.macro _v_cmpx_ne_i32 dst, src0, src1=
   v_cmpx_ne_i32 \dst, \src0, \src1 
.endm

.macro _v_cmpx_ne_i64 dst, src0, src1=
   v_cmpx_ne_i64 \dst, \src0, \src1 
.endm

.macro _v_cmpx_ne_u16 dst, src0, src1=
   v_cmpx_ne_u16 \dst, \src0, \src1 
.endm

.macro _v_cmpx_ne_u32 dst, src0, src1=
   v_cmpx_ne_u32 \dst, \src0, \src1 
.endm

.macro _v_cmpx_ne_u64 dst, src0, src1=
   v_cmpx_ne_u64 \dst, \src0, \src1 
.endm

.macro _v_cmpx_lg_i16 dst, src0, src1=
   v_cmpx_lg_i16 \dst, \src0, \src1 
.endm

.macro _v_cmpx_lg_i32 dst, src0, src1=
   v_cmpx_lg_i32 \dst, \src0, \src1 
.endm

.macro _v_cmpx_lg_i64 dst, src0, src1=
   v_cmpx_lg_i64 \dst, \src0, \src1 
.endm

.macro _v_cmpx_lg_u16 dst, src0, src1=
   v_cmpx_lg_u16 \dst, \src0, \src1 
.endm

.macro _v_cmpx_lg_u32 dst, src0, src1=
   v_cmpx_lg_u32 \dst, \src0, \src1 
.endm

.macro _v_cmpx_lg_u64 dst, src0, src1=
   v_cmpx_lg_u64 \dst, \src0, \src1 
.endm

.macro _v_cmpx_ge_i16 dst, src0, src1=
   v_cmpx_ge_i16 \dst, \src0, \src1 
.endm

.macro _v_cmpx_ge_i32 dst, src0, src1=
   v_cmpx_ge_i32 \dst, \src0, \src1 
.endm

.macro _v_cmpx_ge_i64 dst, src0, src1=
   v_cmpx_ge_i64 \dst, \src0, \src1 
.endm

.macro _v_cmpx_ge_u16 dst, src0, src1=
   v_cmpx_ge_u16 \dst, \src0, \src1 
.endm

.macro _v_cmpx_ge_u32 dst, src0, src1=
   v_cmpx_ge_u32 \dst, \src0, \src1 
.endm

.macro _v_cmpx_ge_u64 dst, src0, src1=
   v_cmpx_ge_u64 \dst, \src0, \src1 
.endm

.macro _v_cmpx_o_i16 dst, src0, src1=
   v_cmpx_o_i16 \dst, \src0, \src1 
.endm

.macro _v_cmpx_o_i32 dst, src0, src1=
   v_cmpx_o_i32 \dst, \src0, \src1 
.endm

.macro _v_cmpx_o_i64 dst, src0, src1=
   v_cmpx_o_i64 \dst, \src0, \src1 
.endm

.macro _v_cmpx_o_u16 dst, src0, src1=
   v_cmpx_o_u16 \dst, \src0, \src1 
.endm

.macro _v_cmpx_o_u32 dst, src0, src1=
   v_cmpx_o_u32 \dst, \src0, \src1 
.endm

.macro _v_cmpx_o_u64 dst, src0, src1=
   v_cmpx_o_u64 \dst, \src0, \src1 
.endm

.macro _v_cmpx_u_i16 dst, src0, src1=
   v_cmpx_u_i16 \dst, \src0, \src1 
.endm

.macro _v_cmpx_u_i32 dst, src0, src1=
   v_cmpx_u_i32 \dst, \src0, \src1 
.endm

.macro _v_cmpx_u_i64 dst, src0, src1=
   v_cmpx_u_i64 \dst, \src0, \src1 
.endm

.macro _v_cmpx_u_u16 dst, src0, src1=
   v_cmpx_u_u16 \dst, \src0, \src1 
.endm

.macro _v_cmpx_u_u32 dst, src0, src1=
   v_cmpx_u_u32 \dst, \src0, \src1 
.endm

.macro _v_cmpx_u_u64 dst, src0, src1=
   v_cmpx_u_u64 \dst, \src0, \src1 
.endm
.macro _v_mac_f32 c:req, a:req, b:req
    v_fmac_f32 \c, \a, \b
.endmacro

/* scale global load macros */
.macro _s_load_b32 dst base offset
    s_load_dword \dst \base \offset
.endm

.macro _s_load_b64 dst base offset
    s_load_dwordx2 \dst \base \offset
.endm

.macro _s_load_b128 dst base offset
    s_load_dwordx4 \dst \base \offset
.endm

.macro _s_load_b256 dst base offset
    s_load_dwordx8 \dst \base \offset
.endm

.macro _s_load_b512 dst base offset
    s_load_dwordx16 \dst \base \offset
.endm


/* ds operation macros */
.macro _ds_load_u8 dst src offset
    ds_read_u8 \dst \src \offset
.endm

.macro _ds_load_u8_d16_hi dst src offset
    ds_read_u8_d16_hi \dst \src \offset
.endm

.macro _ds_load_u16 dst src offset
    ds_read_u16 \dst \src \offset
.endm

.macro _ds_load_u16_d16_hi dst src offset
    ds_read_u16_d16_hi \dst \src \offset
.endm

.macro _ds_load_b32 dst src offset
    ds_read_b32 \dst \src \offset
.endm

.macro _ds_load_b64 dst src offset
    ds_read_b64 \dst \src \offset
.endm

.macro _ds_load_b128 dst src offset
    ds_read_b128 \dst \src \offset
.endm

.macro _ds_store_b8 dst src offset
    ds_write_b8 \dst \src \offset
.endm

.macro _ds_store_b8_d16_hi dst src offset
    ds_write_b8_d16_hi \dst \src \offset
.endm

.macro _ds_store_b16 dst src offset
    ds_write_b16 \dst \src \offset
.endm

.macro _ds_store_b16_d16_hi dst src offset
    ds_write_b16_d16_hi \dst \src \offset
.endm

.macro _ds_store_b32 dst src offset
    ds_write_b32 \dst \src \offset
.endm

.macro _ds_store_b64 dst src offset
    ds_write_b64 \dst \src \offset
.endm

.macro _ds_store_b128 dst src offset
    ds_write_b128 \dst \src \offset
.endm

.macro _ds_load2_b32 dst src offset1 offset2
    ds_read2_b32 \dst \src \offset1 \offset2
.endm

.macro _ds_load2_b64 dst src offset1 offset2
    ds_read2_b64 \dst \src \offset1 \offset2
.endm

.macro _ds_store2_b32 dst src offset1 offset2
    ds_write2_b32 \dst \src \offset1 \offset2
.endm

.macro _ds_store2_b64 dst src offset1 offset2
    ds_write2_b64 \dst \src \offset1 \offset2
.endm


/* buffer memory operation macros */
.macro _buffer_load_b32 dst voffset base soffset offen ioffset md0 md1 md2
    buffer_load_dword \dst \voffset \base \soffset \offen \ioffset \md0 \md1 \md2
.endm

.macro _buffer_load_b64 dst voffset base soffset offen ioffset md0 md1 md2
    buffer_load_dwordx2 \dst \voffset \base \soffset \offen \ioffset \md0 \md1 \md2
.endm

.macro _buffer_load_b96 dst voffset base soffset offen ioffset md0 md1 md2
    buffer_load_dwordx3 \dst \voffset \base \soffset \offen \ioffset \md0 \md1 \md2
.endm

.macro _buffer_load_b128 dst voffset base soffset offen ioffset md0 md1 md2
    buffer_load_dwordx4 \dst \voffset \base \soffset \offen \ioffset \md0 \md1 \md2
.endm

.macro _buffer_load_d16_b16 dst voffset base soffset offen ioffset md0 md1 md2
    buffer_load_short_d16 \dst \voffset \base \soffset \offen \ioffset \md0 \md1 \md2
.endm

.macro _buffer_load_d16_hi_b16 dst voffset base soffset offen ioffset md0 md1 md2
    buffer_load_short_d16_hi \dst \voffset \base \soffset \offen \ioffset \md0 \md1 \md2
.endm

.macro _buffer_load_d16_u8 dst voffset base soffset offen ioffset md0 md1 md2
    buffer_load_ubyte_d16 \dst \voffset \base \soffset \offen \ioffset \md0 \md1 \md2
.endm

.macro _buffer_load_d16_hi_u8 dst voffset base soffset offen ioffset md0 md1 md2
    buffer_load_ubyte_d16_hi \dst \voffset \base \soffset \offen \ioffset \md0 \md1 \md2
.endm

.macro _buffer_load_u16 dst voffset base soffset offen ioffset md0 md1 md2
    buffer_load_ushort \dst \voffset \base \soffset \offen \ioffset \md0 \md1 \md2
.endm

.macro _buffer_load_b32_dtl voffset base soffset offen ioffset md0 md1 md2
    buffer_load_dword \voffset \base \soffset \offen \ioffset \md0 \md1 \md2
.endm

.macro _buffer_load_b64_dtl voffset base soffset offen ioffset md0 md1 md2
    buffer_load_dwordx2 \voffset \base \soffset \offen \ioffset \md0 \md1 \md2
.endm

.macro _buffer_load_b128_dtl voffset base soffset offen ioffset md0 md1 md2
    buffer_load_dwordx4 \voffset \base \soffset \offen \ioffset \md0 \md1 \md2
.endm

.macro _buffer_load_u16_dtl voffset base soffset offen ioffset md0 md1 md2
    buffer_load_ushort \voffset \base \soffset \offen \ioffset \md0 \md1 \md2
.endm

.macro _buffer_store_b32 src voffset base soffset offen ioffset md0 md1 md2
    buffer_store_dword \src \voffset \base \soffset \offen \ioffset \md0 \md1 \md2
.endm

.macro _buffer_store_b64 src voffset base soffset offen ioffset md0 md1 md2
    buffer_store_dwordx2 \src \voffset \base \soffset \offen \ioffset \md0 \md1 \md2
.endm

.macro _buffer_store_b96 src voffset base soffset offen ioffset md0 md1 md2
    buffer_store_dwordx3 \src \voffset \base \soffset \offen \ioffset \md0 \md1 \md2
.endm

.macro _buffer_store_b128 src voffset base soffset offen ioffset md0 md1 md2
    buffer_store_dwordx4 \src \voffset \base \soffset \offen \ioffset \md0 \md1 \md2
.endm

.macro _buffer_store_b16 src voffset base soffset offen ioffset md0 md1 md2
    buffer_store_short \src \voffset \base \soffset \offen \ioffset \md0 \md1 \md2
.endm

.macro _buffer_store_d16_hi_b16 src voffset base soffset offen ioffset md0 md1 md2
    buffer_store_short_d16_hi \src \voffset \base \soffset \offen \ioffset \md0 \md1 \md2
.endm

.macro _buffer_store_b8 src voffset base soffset offen ioffset md0 md1 md2
    buffer_store_byte \src \voffset \base \soffset \offen \ioffset \md0 \md1 \md2
.endm

.macro _buffer_store_d16_hi_b8 src voffset base soffset offen ioffset md0 md1 md2
    buffer_store_byte_d16_hi \src \voffset \base \soffset \offen \ioffset \md0 \md1 \md2
.endm

.macro _buffer_atomic_cmpswap_b32 dst voffset base soffset offen ioffset md0 md1 md2
    buffer_atomic_cmpswap \dst \voffset \base \soffset \offen \ioffset \md0 \md1 \md2
.endm

.macro _buffer_atomic_cmpswap_b64 dst voffset base soffset offen ioffset md0 md1 md2
    buffer_atomic_cmpswap_x2 \dst \voffset \base \soffset \offen \ioffset \md0 \md1 \md2
.endm


/* buffer memory operation macros */
.macro _global_load_b32 dst base src ioffset md0 md1 md2
    global_load_dword \dst \base \src \ioffset \md0 \md1 \md2
.endm

.macro _global_load_b64 dst base src ioffset md0 md1 md2
    global_load_dwordx2 \dst \base \src \ioffset \md0 \md1 \md2
.endm

.macro _global_load_b96 dst base src ioffset md0 md1 md2
    global_load_dwordx3 \dst \base \src \ioffset \md0 \md1 \md2
.endm

.macro _global_load_b128 dst base src ioffset md0 md1 md2
    global_load_dwordx4 \dst \base \src \ioffset \md0 \md1 \md2
.endm

.macro _global_load_d16_b16 dst base src ioffset md0 md1 md2
    global_load_short_d16 \dst \base \src \ioffset \md0 \md1 \md2
.endm

.macro _global_load_d16_hi_b16 dst base src ioffset md0 md1 md2
    global_load_short_d16_hi \dst \base \src \ioffset \md0 \md1 \md2
.endm

.macro _global_load_d16_u8 dst base src ioffset md0 md1 md2
    global_load_ubyte_d16 \dst \base \src \ioffset \md0 \md1 \md2
.endm

.macro _global_load_d16_hi_u8 dst base src ioffset md0 md1 md2
    global_load_ubyte_d16_hi \dst \base \src \ioffset \md0 \md1 \md2
.endm

.macro _global_load_u16 dst base src ioffset md0 md1 md2
    global_load_ushort \dst \base \src \ioffset \md0 \md1 \md2
.endm

.macro _global_store_b32 base src src2 md0 md1 md2
    global_store_dword \base \src \src2 \md0 \md1 \md2
.endm

.macro _global_store_b64 base src src2 md0 md1 md2
    global_store_dwordx2 \base \src \src2 \md0 \md1 \md2
.endm

.macro _global_store_b96 base src src2 md0 md1 md2
    global_store_dwordx3 \base \src \src2 \md0 \md1 \md2
.endm

.macro _global_store_b128 base src src2 md0 md1 md2
    global_store_dwordx4 \base \src \src2 \md0 \md1 \md2
.endm

.macro _global_store_d16_b16 base src src2 md0 md1 md2
    global_store_short \base \src \src2 \md0 \md1 \md2
.endm

.macro _global_store_d16_hi_b16 base src src2 md0 md1 md2
    global_store_short_d16_hi \base \src \src2 \md0 \md1 \md2
.endm

.macro _global_store_d16_u8 base src src2 md0 md1 md2
    global_store_ubyte_d16 \base \src \src2 \md0 \md1 \md2
.endm

.macro _global_store_d16_hi_u8 base src src2 md0 md1 md2
    global_store_ubyte_d16_hi \base \src \src2 \md0 \md1 \md2
.endm

.macro _global_store_u16 base src src2 md0 md1 md2
    global_store_ushort \base \src \src2 \md0 \md1 \md2
.endm

.macro _global_atomic_cmpswap_b32 tmp base data src ioffset md
    global_atomic_cmpswap \tmp \base \data \src \ioffset \md
.endm

.macro _global_atomic_cmpswap_b64 tmp base data src ioffset md
    global_atomic_cmpswap_x2 \tmp \base \data \src \ioffset \md
.endm


/******************************************/
/* Magic div and mod functions            */
/******************************************/
.macro V_MAGIC_DIV dstIdx:req, dividend:req, magicNumber:req, magicShift:req, magicA:req
    v_mul_hi_u32 v[\dstIdx+1], \dividend, \magicNumber
    v_mul_lo_u32 v[\dstIdx+0], \dividend, \magicA
    _v_add_u32 v[\dstIdx+0], v[\dstIdx+0], v[\dstIdx+1]
    v_lshrrev_b32 v[\dstIdx+0], \magicShift, v[\dstIdx+0]
.endm

/******************************************/
/* VGPR Assignments                       */
/******************************************/
/* ValuC range: [0-0), serializedStore enabled */
.set vgprValuC, 0
/* ValuA/B   Xn=PLR buffer idx,  In=InnerUnroll idx */
.set vgprValuA_X0_I0, 0
.set vgprValuA_X1_I0, 2
.set vgprG2LA, 30
.set vgprValuB_X0_I0, 4
.set vgprValuB_X1_I0, 12
.set vgprG2LB, 38
.set vgprLocalWriteAddrA, 20
.set vgprLocalWriteAddrB, 21
.set vgprGlobalReadOffsetA, 22
.set vgprGlobalReadOffsetB, 26
.set vgprLocalReadAddrA, 46
.set vgprLocalReadAddrB, 47
.set vgprSerial, 48
/* Num VGPR=256 */
/* Num AccVGPR=256 */

/******************************************/
/* SGPR Assignments                       */
/******************************************/
.set sgprKernArgAddress, 0 // (2)
.set sgprWorkGroup0, 2 // (1)
.set sgprWorkGroup1, 3 // (1)
.set sgprWorkGroup2, 4 // (1)
.set sgprLoopCounterL, 5 // (1)
.set sgprOrigLoopCounter, 6 // (1)
.set sgprSrdA, 8 // (4)
.set sgprSrdB, 12 // (4)
.set sgprSrdD, 16 // (4)
.set sgprSrdC, 20 // (4)
.set sgprTensor2dSizeA, 24 // (2)
.set sgprTensor2dSizeB, 26 // (2)
.set sgprAddressD, 28 // (2)
.set sgprAddressC, 30 // (2)
.set sgprAddressA, 32 // (2)
.set sgprAddressB, 34 // (2)
.set sgprAlpha, 36 // (1)
.set sgprBeta, 37 // (1)
.set sgprStridesD, 38 // (2)
.set sgprStridesC, 40 // (2)
.set sgprStridesA, 42 // (2)
.set sgprStridesB, 44 // (2)
.set sgprSizesFree, 46 // (3)
.set sgprSizesSum, 49 // (1)
.set sgprNumWorkGroups0, 50 // (1)
.set sgprNumWorkGroups1, 51 // (1)
.set sgprShadowLimitA, 0 // (2)
.set sgprShadowLimitB, 28 // (2)
.set sgprGlobalReadIncsA, 7 // (1)
.set sgprGlobalReadIncsB, 30 // (1)
/* max SGPR=58 */

/* Size Assignments */
.set sgprSizeI, sgprSizesFree+0
.set sgprSizeJ, sgprSizesFree+1
.set sgprSizeK, sgprSizesFree+2
.set sgprSizeL, sgprSizesSum+0

/* Stride Assignments */
.set constStrideD0I, 1
.set sgprStrideD1J, sgprStridesD+0
.set sgprStrideDK, sgprStridesD+1
.set constStrideC0I, 1
.set sgprStrideC1J, sgprStridesC+0
.set sgprStrideCK, sgprStridesC+1
.set constStrideA0I, 1
.set sgprStrideAL, sgprStridesA+0
.set sgprStrideAK, sgprStridesA+1
.set constStrideB1J, 1
.set sgprStrideBL, sgprStridesB+0
.set sgprStrideBK, sgprStridesB+1

.set MT0, 256
.set MT1, 256
.set DepthU, 32
.set GSU, 1
.set BpeA, 1
.set BpeALog2, 0
.set BpeB, 1
.set BpeBLog2, 0
/* Number of elements to shift-left SRD */
.set SrdShiftLeftA, 8
.set SrdShiftLeftB, 8
/* 2GB limit - set offsets to -1 to exceed this and clamp */
.set BufferLimitA, 0xffffffff
.set BufferLimitB, 0xffffffff
.set BufferOOB, 0xfffff000

/******************************************/
/* Bits 127:96 of SRD.                    */
/* hex: 0x00020000                        */
/* dst_sel_x (3b): 0                      */
/* dst_sel_y (3b): 0                      */
/* dst_sel_z (3b): 0                      */
/* dst_sel_w (3b): 0                      */
/* num_format (3b): 0                     */
/* data_format (4b): 4                    */
/* user_vm_enable (1b): 0                 */
/* user_vm_mode (1b): 0                   */
/* index_stride (2b): 0                   */
/* add_tid_enable (1b): 0                 */
/* _unusedA (3b): 0                       */
/* nv (1b): 0                             */
/* _unusedB (2b): 0                       */
/* type (2b): 0                           */
/******************************************/
.set Srd127_96, 0x00020000

/* Global Offset A */
.macro GLOBAL_OFFSET_A vgprAddr:req vgprOffset0I:req vgprOffsetL:req vgprTmp:req
v_mul_lo_u32 v[\vgprTmp+0], s[sgprStrideAL], v[\vgprOffsetL] // mul d1 lower
_v_add_co_u32 v[\vgprAddr+0], vcc, v[\vgprOffset0I], v[\vgprTmp+0] // accumulate K lower
_v_add_u32 v[\vgprAddr+0], 0x8, v[\vgprAddr+0]     // add prepad for pointer shift
                                                   // offset *= bytes/element (multiplier is 1, do nothing)
.endm

/* Global Offset B */
.macro GLOBAL_OFFSET_B vgprAddr:req vgprOffset1J:req vgprOffsetL:req vgprTmp:req
v_mul_lo_u32 v[\vgprTmp+0], s[sgprStrideBL], v[\vgprOffsetL] // mul d1 lower
_v_add_co_u32 v[\vgprAddr+0], vcc, v[\vgprOffset1J], v[\vgprTmp+0] // accumulate K lower
_v_add_u32 v[\vgprAddr+0], 0x8, v[\vgprAddr+0]     // add prepad for pointer shift
                                                   // offset *= bytes/element (multiplier is 1, do nothing)
.endm

/******************************************/
/* Dynamic Scalar Divide: vQuotient=vDividend/vDivisor; vRemainder=vDividend%vDivisor; */
/******************************************/
.macro DYNAMIC_VECTOR_DIVIDE vQuotient vRemainder vDividend vDivisor vTmp0 vTmp1 sTmp
v_cvt_f32_u32 v[\vQuotient], v[\vDivisor]          // 
v_rcp_f32 v[\vQuotient], v[\vQuotient]             // 
v_mul_f32 v[\vQuotient], 0x4f800000, v[\vQuotient] // 
v_cvt_u32_f32 v[\vQuotient], v[\vQuotient]         // 
v_mul_lo_u32 v[\vRemainder], v[\vDivisor], v[\vQuotient] // 
v_mul_hi_u32 v[\vTmp0], v[\vDivisor], v[\vQuotient] // 
_v_sub_co_u32 v[\vTmp1], vcc, 0x0, v[\vRemainder]  // 
v_cmp_ne_i32 s[\sTmp:\sTmp+1], 0x0, v[\vTmp0]      // 
v_cndmask_b32 v[\vRemainder], v[\vTmp1], v[\vRemainder], s[\sTmp:\sTmp+1] // 
v_mul_hi_u32 v[\vRemainder], v[\vRemainder], v[\vQuotient] // 
_v_sub_co_u32 v[\vTmp0], vcc, v[\vQuotient], v[\vRemainder] // 
_v_add_co_u32 v[\vQuotient], vcc, v[\vQuotient], v[\vRemainder] // 
v_cndmask_b32 v[\vQuotient], v[\vQuotient], v[\vTmp0], s[\sTmp:\sTmp+1] // 
v_mul_hi_u32 v[\vQuotient], v[\vQuotient], v[\vDividend] // 
v_mul_lo_u32 v[\vRemainder], v[\vQuotient], v[\vDivisor] // 
_v_sub_co_u32 v[\vTmp0], vcc, v[\vDividend], v[\vRemainder] // 
v_cmp_ge_u32 s[\sTmp:\sTmp+1], v[\vDividend], v[\vRemainder] // 
_v_add_co_u32 v[\vRemainder], vcc, 0x1, v[\vQuotient] // 
_v_add_co_u32 v[\vTmp1], vcc, -1, v[\vQuotient]    // 
v_cmp_le_u32 vcc, v[\vDivisor], v[\vTmp0]          // 
s_and_b64 vcc, s[\sTmp:\sTmp+1], vcc               // 
v_cndmask_b32 v[\vQuotient], v[\vQuotient], v[\vRemainder], vcc // 
v_cndmask_b32 v[\vQuotient], v[\vTmp1], v[\vQuotient], s[\sTmp:\sTmp+1] // 
v_cmp_ne_i32 vcc, 0x0, v[\vDivisor]                // 
v_cndmask_b32 v[\vQuotient], -1, v[\vQuotient], vcc // final result
v_mul_lo_u32 v[\vRemainder], v[\vQuotient], v[\vDivisor] // 
_v_sub_co_u32 v[\vRemainder], vcc, v[\vDividend], v[\vRemainder] // final result
.endm


	;; [unrolled: 1-line block ×3, first 2 shown]
/******************************************/
/* Allocate Resources                     */
/******************************************/

Cijk_Ailk_Bjlk_I8II_BH_MT256x256x32_MI32x32x8x1_SE_1LDSB0_APM1_AF0EM8_AF1EM1_AMAS0_ASE_ASAE01_ASCE01_ASEM1_BL1_DTLA0_DTLB0_DVO0_EPS1_FL0_GLVWA8_GLVWB8_GRVW8_GSU1_GSUASB_ISA908_IU1_K1_KLA_LBSPPA0_LBSPPB0_LPA0_LPB0_LDL1_LRVW4_LDW0_FMA_MDA2_MMFGLC_NTC0_NTD0_NEPBS0_NLCA1_NLCB1_ONLL1_OPLV0_PK0_PAP0_PGR1_PLR1_SIA3_SS0_SU0_SUM0_SUS0_SPO0_SRVW4_SSO0_SVW4_SNLL0_TT2_256_TLDS0_UMLDSA0_UMLDSB0_USFGROn1_VAW1_VSn1_VW1_VWB1_WSGRA1_WSGRB1_WG128_2_1_WGM1_preloaded: // Kernel start when preloading

/* Load Kernel Args */
_s_load_b512 s[24:39], s[sgprKernArgAddress:sgprKernArgAddress+1], 0x0 // 
_s_load_b256 s[40:47], s[sgprKernArgAddress:sgprKernArgAddress+1], 0x40 // 
_s_load_b128 s[48:51], s[sgprKernArgAddress:sgprKernArgAddress+1], 0x60 // 
s_mov_b32 m0, 0x8200                               // LDS clamp at 33280 bytes
v_mov_b32 v[vgprSerial], v0                        // thread serial id

/******************************************/
/* Local Read Addresses                   */
/******************************************/


/* local read addresses: tile assignments a/b */

/*lr0I*/
v_and_b32 v1, 63, v[vgprSerial]                    // 0. thread id in wave: wtid = tid % wavelength(64)
v_and_b32 v0, 31, v1                               // 1. N offset: nIdx = wtid % MI_N(32)
                                                   // 1. N offset: nOffset = nIdx * nStride(1) (multiplier is 1, do nothing)
                                                   // 2. block offset: bnIdx = bnIdx % num1DBlocks(1) is 0. do nothing
                                                   // 4. apply VectorWidth: bnOffset = bnOffset * vw(1) (multiplier is 1, do nothing)
v_lshrrev_b32 v1, 5, v1                            // 5. K offset: kIdx = wtid / (MIN(32) * MIBB(1))
v_lshlrev_b32 v1, 0xa, v1                          // 5. K offset: lrKOffset = kIdx * mStride(1024)
_v_add_u32 v0, v1, v0                              // 6. offset in wave: lrOffset = bnOffset + lrKOffset
v_lshrrev_b32 v2, 6, v[vgprSerial]                 // 7. wave offset in N dimen: wtid = tid / dividedForWaveId(64)
v_and_b32 v1, 3, v2                                // 7. wave offset in M dimen: wtid0 = wtid / num1DWaves(4)
v_lshlrev_b32 v1, 0x5, v1                          // 7. wave offset in M dimen: wOffset = wtid0 * W0Stride(32)
_v_add_u32 v0, v1, v0                              // 8. final local read offset: flrOffset = lrOffset + WOffset
/*lr1J*/
v_and_b32 v2, 63, v[vgprSerial]                    // 0. thread id in wave: wtid = tid % wavelength(64)
v_and_b32 v1, 31, v2                               // 1. N offset: nIdx = wtid % MI_N(32)
                                                   // 1. N offset: nOffset = nIdx * nStride(1) (multiplier is 1, do nothing)
                                                   // 2. block offset: bnIdx = bnIdx % num1DBlocks(1) is 0. do nothing
                                                   // 4. apply VectorWidth: bnOffset = bnOffset * vw(1) (multiplier is 1, do nothing)
v_lshrrev_b32 v2, 5, v2                            // 5. K offset: kIdx = wtid / (MIN(32) * MIBB(1))
v_lshlrev_b32 v2, 0xa, v2                          // 5. K offset: lrKOffset = kIdx * mStride(1024)
_v_add_u32 v1, v2, v1                              // 6. offset in wave: lrOffset = bnOffset + lrKOffset


/* local read addresses: final offsets a */

v_lshlrev_b32 v[vgprLocalReadAddrA], 0x0, v0       // Final Offset: offset = (lro0)*bpe


/* local read addresses: final offsets b */

v_lshlrev_b32 v[vgprLocalReadAddrB], 0x0, v1       // Final Offset: offset = (lro1)*bpe


/* local read addresses: declare addresses a */

/* N/A */


/* local read addresses: declare addresses b */

_v_add_co_u32 v[vgprLocalReadAddrB+0], vcc, 0x2000, v[vgprLocalReadAddrB+0] //  += LdsOffsetB (lower)


/* global read addresses: tile offset assignment a */

/* LVCA = 32 */
/* v0 = (local)groA-tile = serial%LVCA (note (wgA*MTA) will be added to SRD) */
/* v1 = groA-unroll = serial/LVCA */
v_and_b32 v2, 63, v[vgprSerial]                    // v2 = v[vgprSerial] % 64
v_lshrrev_b32 v1, 5, v2                            // v1 = v2 / 32
v_and_b32 v0, 31, v2                               // v0 = v2 % 32
v_readfirstlane_b32 s52, v[vgprSerial]             // WaveIdxWavefrontWidth
s_lshr_b32 s52, s52, 0x6                           // WaveId
s_mul_i32 s52, s52, 8                              // Global Read Wave: each wave loads continuous lsp(2)*nrp(4) columns
_v_add_u32 v1, s52, v1                             // Global Read Wave: add back to column index
/* gro-tile *= glvw */
v_lshlrev_b32 v0, 0x3, v0                          // v0 = v0 * 8


/* global read addresses: tile offset assignment b */

/* LVCB = 32 */
/* v2 = (local)groB-tile = serial%LVCB (note (wgB*MTB) will be added to SRD) */
/* v3 = groB-unroll = serial/LVCB */
v_and_b32 v4, 63, v[vgprSerial]                    // v4 = v[vgprSerial] % 64
v_lshrrev_b32 v3, 5, v4                            // v3 = v4 / 32
v_and_b32 v2, 31, v4                               // v2 = v4 % 32
v_readfirstlane_b32 s52, v[vgprSerial]             // WaveIdxWavefrontWidth
s_lshr_b32 s52, s52, 0x6                           // WaveId
s_mul_i32 s52, s52, 8                              // Global Read Wave: each wave loads continuous lsp(2)*nrp(4) columns
_v_add_u32 v3, s52, v3                             // Global Read Wave: add back to column index
/* gro-tile *= glvw */
v_lshlrev_b32 v2, 0x3, v2                          // v2 = v2 * 8


/******************************************/
/* Local Write Addresses                  */
/******************************************/

/* lwaTileAssignmentA = v0 */

/* lwaTileAssignmentB = v2 */

/* lwaUnrollAssignmentA = v1 */

/* lwaUnrollAssignmentB = v3 */


/* local write addresses: first offset a */

v_mul_u32_u24 v[vgprLocalWriteAddrA], 0x100, v1    // lwAL**(MTA + PAD)
_v_add_lshl_u32 v[vgprLocalWriteAddrA], v0, v[vgprLocalWriteAddrA], 0x0 // lwFOA = (lwAA + lwAL*(MT0I+PAD))*bpe


/* local write addresses: first offset b */

v_mul_u32_u24 v[vgprLocalWriteAddrB], 0x100, v3    // lwBL**(MTB + PAD)
_v_add_lshl_u32 v[vgprLocalWriteAddrB], v2, v[vgprLocalWriteAddrB], 0x0 // lwFOB = (lwBB + lwBL*(MT1J+PAD))*bpe
_v_add_co_u32 v[vgprLocalWriteAddrB], vcc, 0x2000, v[vgprLocalWriteAddrB] // lwFOB = lwB1J + lwBL*MT1J + LDS_OFFSET_B=8192*1


	;; [unrolled: 1-line block ×7, first 2 shown]
s_waitcnt lgkmcnt(0)                               // wait for 112 bytes of kern args
s_mov_b64 s[sgprSrdC+0:sgprSrdC+0+1], s[sgprAddressC+0:sgprAddressC+0+1] // copy addressC
s_mov_b64 s[sgprSrdD+0:sgprSrdD+0+1], s[sgprAddressD+0:sgprAddressD+0+1] // copy addressD
s_sub_u32 s[sgprSrdA+0], s[sgprAddressA+0], 8      // pre-pad to make room for possible pointer shift
s_subb_u32 s[sgprSrdA+1], s[sgprAddressA+1], 0     // pre-pad to make room for possible pointer shift
s_sub_u32 s[sgprSrdB+0], s[sgprAddressB+0], 8      // pre-pad to make room for possible pointer shift
s_subb_u32 s[sgprSrdB+1], s[sgprAddressB+1], 0     // pre-pad to make room for possible pointer shift

.set AddressD, UNDEF
.set AddressC, UNDEF
.set AddressA, UNDEF
.set AddressB, UNDEF

/* Short circuit condition if Alpha == 0, then sumDims=0 */
s_cmp_eq_u32 s[sgprAlpha], 0                       // Alpha == 0 ?
s_cmov_b32 s[sgprSizesSum+0], 0x0                  // Set summation dim=0 if Alpha == 0



/******************************************/
/* Begin setupNewTile, isPap=False           */
/******************************************/


/* global read addresses: work-group */

/* graWorkGroup mapping */


/* global read addresses: unroll assignment a */

/* v1 */


/* global read addresses: unroll assignment b */

/* v3 */


/* global read addresses: other free assignments */

/* s[sgprWorkGroup2] */


/* global read addresses: tile offsets a */

v_mov_b32 v4, v0                                   // groA0I_0


/* global read addresses: tile offsets b */

v_mov_b32 v5, v2                                   // groB1J_0


/* global read addresses: unroll offsets a */

v_mov_b32 v6, v1                                   // groAL_0
_v_add_co_u32 v7, vcc, 2, v6                       // groAL_1 + LSPA
_v_add_co_u32 v8, vcc, 2, v7                       // groAL_2 + LSPA
_v_add_co_u32 v9, vcc, 2, v8                       // groAL_3 + LSPA


/* global read addresses: unroll offsets b */

v_mov_b32 v10, v3                                  // groBL_0
_v_add_co_u32 v11, vcc, 2, v10                     // groBL_1 + LSPB
_v_add_co_u32 v12, vcc, 2, v11                     // groBL_2 + LSPB
_v_add_co_u32 v13, vcc, 2, v12                     // groBL_3 + LSPB


/* global read addresses: shift b */

s_mul_i32 s31, s[sgprWorkGroup1], 256              // WorkGroup[01] * MT
s_sub_u32 s31, s[sgprSizeJ], s31                   // edge = Size1J - WG*MT
s_sub_u32 s31, s31, 8                              // edge -= margin(8)
v_mov_b32 v14, s31                                 // edge vgpr = Size1J- WG*MT - margin(8)
v_min_i32 v5, v14, v5                              // offset = (offset < edge) ? offset(v5) : edge(v14)


/* global read addresses: final offsets a */

GLOBAL_OFFSET_A vgprGlobalReadOffsetA+0,  4,  6, 14 // gROA_0_0_0_0
GLOBAL_OFFSET_A vgprGlobalReadOffsetA+1,  4,  7, 14 // gROA_0_0_1_0
GLOBAL_OFFSET_A vgprGlobalReadOffsetA+2,  4,  8, 14 // gROA_0_0_2_0
GLOBAL_OFFSET_A vgprGlobalReadOffsetA+3,  4,  9, 14 // gROA_0_0_3_0


/* global read addresses: final offsets b */

GLOBAL_OFFSET_B vgprGlobalReadOffsetB+0,  5, 10, 6 // gROB_0_0_0_0
GLOBAL_OFFSET_B vgprGlobalReadOffsetB+1,  5, 11, 6 // gROB_0_0_1_0
GLOBAL_OFFSET_B vgprGlobalReadOffsetB+2,  5, 12, 6 // gROB_0_0_2_0
GLOBAL_OFFSET_B vgprGlobalReadOffsetB+3,  5, 13, 6 // gROB_0_0_3_0


/* global read addresses: addresses a */

/* max read offset = size[n] * stride[n-1] */
s_mul_hi_u32 s35, s[sgprWorkGroup0], 256           // WorkGroup[01] * MT
s_mul_i32 s34, s[sgprWorkGroup0], 256              // WorkGroup[01] * MT
s_sub_u32 s[sgprShadowLimitA+0], s[sgprTensor2dSizeA], s34 // sub tileStart
s_subb_u32 s[sgprShadowLimitA+1], s[sgprTensor2dSizeA+1], s35 // sub tileStart
s_lshl_b64 s[sgprShadowLimitA:sgprShadowLimitA+1], s[sgprShadowLimitA:sgprShadowLimitA+1], 0x0 // Set limit to use bytes
s_add_u32 s[sgprShadowLimitA+0], s[sgprShadowLimitA+0], 8 // extend limit for pre-pad
s_addc_u32 s[sgprShadowLimitA+1], s[sgprShadowLimitA+1], 0 // extend limit for pre-pad
s_cmp_eq_u32 s[sgprShadowLimitA+1], 0              // are we within 2^32?
s_cselect_b32 s[sgprSrdA+2], s[sgprShadowLimitA+0], BufferLimitA // Move shadow to real if we are within 2^32
s_mul_hi_u32 s33, s[sgprStrideAK], s[sgprWorkGroup2] // Stride*WG
s_mul_i32 s32, s[sgprStrideAK], s[sgprWorkGroup2]  // Stride*WG
s_add_u32 s34, s34, s32                            // accum wg term to tilestart
s_addc_u32 s35, s35, s33                           // accum wg term to tilestart
                                                   // tileStart *= BPE (multiplier is 1, do nothing)
s_add_u32 s[sgprSrdA+0], s[sgprSrdA+0], s34        // SRD base = Address+ tileStart0
s_addc_u32 s[sgprSrdA+1], s[sgprSrdA+1], s35       // SRD base = Address+ tileStart1
s_mov_b32 s[sgprSrdA+3], Srd127_96                 // Set bits 127_96 in SRD


/* global read addresses: addresses b */

/* max read offset = size[n] * stride[n-1] */
s_mul_hi_u32 s35, s[sgprWorkGroup1], 256           // WorkGroup[01] * MT
s_mul_i32 s34, s[sgprWorkGroup1], 256              // WorkGroup[01] * MT
s_sub_u32 s[sgprShadowLimitB+0], s[sgprTensor2dSizeB], s34 // sub tileStart
s_subb_u32 s[sgprShadowLimitB+1], s[sgprTensor2dSizeB+1], s35 // sub tileStart
s_lshl_b64 s[sgprShadowLimitB:sgprShadowLimitB+1], s[sgprShadowLimitB:sgprShadowLimitB+1], 0x0 // Set limit to use bytes
s_add_u32 s[sgprShadowLimitB+0], s[sgprShadowLimitB+0], 8 // extend limit for pre-pad
s_addc_u32 s[sgprShadowLimitB+1], s[sgprShadowLimitB+1], 0 // extend limit for pre-pad
s_cmp_eq_u32 s[sgprShadowLimitB+1], 0              // are we within 2^32?
s_cselect_b32 s[sgprSrdB+2], s[sgprShadowLimitB+0], BufferLimitB // Move shadow to real if we are within 2^32
s_mul_hi_u32 s33, s[sgprStrideBK], s[sgprWorkGroup2] // Stride*WG
s_mul_i32 s32, s[sgprStrideBK], s[sgprWorkGroup2]  // Stride*WG
s_add_u32 s34, s34, s32                            // accum wg term to tilestart
s_addc_u32 s35, s35, s33                           // accum wg term to tilestart
                                                   // tileStart *= BPE (multiplier is 1, do nothing)
s_add_u32 s[sgprSrdB+0], s[sgprSrdB+0], s34        // SRD base = Address+ tileStart0
s_addc_u32 s[sgprSrdB+1], s[sgprSrdB+1], s35       // SRD base = Address+ tileStart1
s_mov_b32 s[sgprSrdB+3], Srd127_96                 // Set bits 127_96 in SRD


/* global read addresses: increments a */

s_mul_i32 s[sgprGlobalReadIncsA+0], DepthU*BpeA, s[sgprStrideAL] // incrA unrollIdx)


/* global read addresses: increments b */

s_mul_i32 s[sgprGlobalReadIncsB+0], DepthU*BpeB, s[sgprStrideBL] // incrB unrollIdx)

/* declare loop num iterations */


s_lshr_b32 s[sgprLoopCounterL], s[sgprSizesSum+0], 5 // s[sgprLoopCounterL] = s[sgprSizesSum+0] / 32
s_mov_b32 s[sgprOrigLoopCounter], s[sgprLoopCounterL] // copy loop counter

/* local read addresses: init pointers a */


/* localReadInitPointers */

/* local read addresses: init pointers b */


/* localReadInitPointers */


/* prefetch: global -> local */

s_cmp_eq_u32 s[sgprLoopCounterL], 0                // at last iteration?
s_cbranch_scc1 ShadowInitStart_10                  // skip to ShadowInitStart iter b/c numIter==0


_buffer_load_b64 v[vgprG2LA+0:vgprG2LA+0+1], v[vgprGlobalReadOffsetA+0], s[sgprSrdA:sgprSrdA+3], 0, offen offset:0 // G -> Reg 0_0_0_0
_buffer_load_b64 v[vgprG2LA+2:vgprG2LA+2+1], v[vgprGlobalReadOffsetA+1], s[sgprSrdA:sgprSrdA+3], 0, offen offset:0 // G -> Reg 0_0_1_0
_buffer_load_b64 v[vgprG2LA+4:vgprG2LA+4+1], v[vgprGlobalReadOffsetA+2], s[sgprSrdA:sgprSrdA+3], 0, offen offset:0 // G -> Reg 0_0_2_0
_buffer_load_b64 v[vgprG2LA+6:vgprG2LA+6+1], v[vgprGlobalReadOffsetA+3], s[sgprSrdA:sgprSrdA+3], 0, offen offset:0 // G -> Reg 0_0_3_0


_buffer_load_b64 v[vgprG2LB+0:vgprG2LB+0+1], v[vgprGlobalReadOffsetB+0], s[sgprSrdB:sgprSrdB+3], 0, offen offset:0 // G -> Reg 0_0_0_0
_buffer_load_b64 v[vgprG2LB+2:vgprG2LB+2+1], v[vgprGlobalReadOffsetB+1], s[sgprSrdB:sgprSrdB+3], 0, offen offset:0 // G -> Reg 0_0_1_0
_buffer_load_b64 v[vgprG2LB+4:vgprG2LB+4+1], v[vgprGlobalReadOffsetB+2], s[sgprSrdB:sgprSrdB+3], 0, offen offset:0 // G -> Reg 0_0_2_0
_buffer_load_b64 v[vgprG2LB+6:vgprG2LB+6+1], v[vgprGlobalReadOffsetB+3], s[sgprSrdB:sgprSrdB+3], 0, offen offset:0 // G -> Reg 0_0_3_0


/* global read inc A loopL */
s_add_u32 s[sgprSrdA+0], s[sgprSrdA+0], s[sgprGlobalReadIncsA+0] // gra SRD += inc(lower)
s_addc_u32  s[sgprSrdA+1], s[sgprSrdA+1], 0        // gra SRD += inc(upper)
s_sub_u32 s[sgprShadowLimitA+0], s[sgprShadowLimitA+0], s[sgprGlobalReadIncsA+0] // limit -= inc)
s_subb_u32 s[sgprShadowLimitA+1], s[sgprShadowLimitA+1], 0 // limit -= inc)
s_cmp_eq_u32 s[sgprShadowLimitA+1], 0              // are we within 2^32?
s_cmov_b32 s[sgprSrdA+2], s[sgprShadowLimitA+0]    // Move shadow to real if we are within 2^32

/* global read inc B loopL */
s_add_u32 s[sgprSrdB+0], s[sgprSrdB+0], s[sgprGlobalReadIncsB+0] // gra SRD += inc(lower)
s_addc_u32  s[sgprSrdB+1], s[sgprSrdB+1], 0        // gra SRD += inc(upper)
s_sub_u32 s[sgprShadowLimitB+0], s[sgprShadowLimitB+0], s[sgprGlobalReadIncsB+0] // limit -= inc)
s_subb_u32 s[sgprShadowLimitB+1], s[sgprShadowLimitB+1], 0 // limit -= inc)
s_cmp_eq_u32 s[sgprShadowLimitB+1], 0              // are we within 2^32?
s_cmov_b32 s[sgprSrdB+2], s[sgprShadowLimitB+0]    // Move shadow to real if we are within 2^32


/******************************************/
/* End setupNewTile, isPap=False             */
/******************************************/

ShadowInitStart_10: // 

s_mov_b32 s[sgprSrdD+2], BufferOOB                 // 
s_mov_b32 s[sgprSrdD+3], Srd127_96                 // Set bits 127_96 in post-loop SRD

s_mov_b32 s[sgprSrdC+2], BufferOOB                 // 
s_mov_b32 s[sgprSrdC+3], Srd127_96                 // Set bits 127_96 in post-loop SRD


s_mul_i32 s34, MT1, s[sgprWorkGroup1]              // <- wg1*MT1
s_mul_hi_u32 s33, s34, s[sgprStrideC1J]            // CScale s34 by Stride
s_mul_i32 s32, s34, s[sgprStrideC1J]               // CScale s34 by Stride
s_lshl_b64 s[32:33], s[32:33], 2                   // scale by bpe
s_add_u32 s[sgprSrdC+0], s[sgprSrdC+0], s32        // add lo to SRD
s_addc_u32 s[sgprSrdC+1], s[sgprSrdC+1], s33       // add hi to SRD
s_mul_hi_u32 s33, s34, s[sgprStrideD1J]            // Scale s34 by Stride
s_mul_i32 s32, s34, s[sgprStrideD1J]               // Scale s34 by Stride
s_lshl_b64 s[32:33], s[32:33], 2                   // scale by bpe
s_add_u32 s[sgprSrdD+0], s[sgprSrdD+0], s32        // add lo to SRD
s_addc_u32 s[sgprSrdD+1], s[sgprSrdD+1], s33       // add hi to SRD

s_mul_hi_u32 s33, s[sgprWorkGroup2], s[sgprStrideCK] // CScale s[sgprWorkGroup2] by Stride
s_mul_i32 s32, s[sgprWorkGroup2], s[sgprStrideCK]  // CScale s[sgprWorkGroup2] by Stride
s_lshl_b64 s[32:33], s[32:33], 2                   // scale by bpe
s_add_u32 s[sgprSrdC+0], s[sgprSrdC+0], s32        // add lo to SRD
s_addc_u32 s[sgprSrdC+1], s[sgprSrdC+1], s33       // add hi to SRD
s_mul_hi_u32 s33, s[sgprWorkGroup2], s[sgprStrideDK] // Scale s[sgprWorkGroup2] by Stride
s_mul_i32 s32, s[sgprWorkGroup2], s[sgprStrideDK]  // Scale s[sgprWorkGroup2] by Stride
s_lshl_b64 s[32:33], s[32:33], 2                   // scale by bpe
s_add_u32 s[sgprSrdD+0], s[sgprSrdD+0], s32        // add lo to SRD
s_addc_u32 s[sgprSrdD+1], s[sgprSrdD+1], s33       // add hi to SRD


	;; [unrolled: 1-line block ×3, first 2 shown]
/* initC: remove C-tile 0-0 from pool */

/* initC: remove AB-tile 0-20 from pool */
v_accvgpr_write acc0, 0x0                          // initC
v_accvgpr_write acc1, 0x0                          // initC
v_accvgpr_write acc2, 0x0                          // initC
v_accvgpr_write acc3, 0x0                          // initC
v_accvgpr_write acc4, 0x0                          // initC
v_accvgpr_write acc5, 0x0                          // initC
v_accvgpr_write acc6, 0x0                          // initC
v_accvgpr_write acc7, 0x0                          // initC
v_accvgpr_write acc8, 0x0                          // initC
v_accvgpr_write acc9, 0x0                          // initC
v_accvgpr_write acc10, 0x0                         // initC
v_accvgpr_write acc11, 0x0                         // initC
v_accvgpr_write acc12, 0x0                         // initC
v_accvgpr_write acc13, 0x0                         // initC
v_accvgpr_write acc14, 0x0                         // initC
v_accvgpr_write acc15, 0x0                         // initC
v_accvgpr_write acc16, 0x0                         // initC
v_accvgpr_write acc17, 0x0                         // initC
v_accvgpr_write acc18, 0x0                         // initC
v_accvgpr_write acc19, 0x0                         // initC
v_accvgpr_write acc20, 0x0                         // initC
v_accvgpr_write acc21, 0x0                         // initC
v_accvgpr_write acc22, 0x0                         // initC
v_accvgpr_write acc23, 0x0                         // initC
v_accvgpr_write acc24, 0x0                         // initC
v_accvgpr_write acc25, 0x0                         // initC
v_accvgpr_write acc26, 0x0                         // initC
v_accvgpr_write acc27, 0x0                         // initC
v_accvgpr_write acc28, 0x0                         // initC
v_accvgpr_write acc29, 0x0                         // initC
v_accvgpr_write acc30, 0x0                         // initC
v_accvgpr_write acc31, 0x0                         // initC
v_accvgpr_write acc32, 0x0                         // initC
v_accvgpr_write acc33, 0x0                         // initC
v_accvgpr_write acc34, 0x0                         // initC
v_accvgpr_write acc35, 0x0                         // initC
v_accvgpr_write acc36, 0x0                         // initC
v_accvgpr_write acc37, 0x0                         // initC
v_accvgpr_write acc38, 0x0                         // initC
v_accvgpr_write acc39, 0x0                         // initC
v_accvgpr_write acc40, 0x0                         // initC
v_accvgpr_write acc41, 0x0                         // initC
v_accvgpr_write acc42, 0x0                         // initC
v_accvgpr_write acc43, 0x0                         // initC
v_accvgpr_write acc44, 0x0                         // initC
v_accvgpr_write acc45, 0x0                         // initC
v_accvgpr_write acc46, 0x0                         // initC
v_accvgpr_write acc47, 0x0                         // initC
v_accvgpr_write acc48, 0x0                         // initC
v_accvgpr_write acc49, 0x0                         // initC
v_accvgpr_write acc50, 0x0                         // initC
v_accvgpr_write acc51, 0x0                         // initC
v_accvgpr_write acc52, 0x0                         // initC
v_accvgpr_write acc53, 0x0                         // initC
v_accvgpr_write acc54, 0x0                         // initC
v_accvgpr_write acc55, 0x0                         // initC
v_accvgpr_write acc56, 0x0                         // initC
v_accvgpr_write acc57, 0x0                         // initC
v_accvgpr_write acc58, 0x0                         // initC
v_accvgpr_write acc59, 0x0                         // initC
v_accvgpr_write acc60, 0x0                         // initC
v_accvgpr_write acc61, 0x0                         // initC
v_accvgpr_write acc62, 0x0                         // initC
v_accvgpr_write acc63, 0x0                         // initC
v_accvgpr_write acc64, 0x0                         // initC
v_accvgpr_write acc65, 0x0                         // initC
v_accvgpr_write acc66, 0x0                         // initC
v_accvgpr_write acc67, 0x0                         // initC
v_accvgpr_write acc68, 0x0                         // initC
v_accvgpr_write acc69, 0x0                         // initC
v_accvgpr_write acc70, 0x0                         // initC
v_accvgpr_write acc71, 0x0                         // initC
v_accvgpr_write acc72, 0x0                         // initC
v_accvgpr_write acc73, 0x0                         // initC
v_accvgpr_write acc74, 0x0                         // initC
v_accvgpr_write acc75, 0x0                         // initC
v_accvgpr_write acc76, 0x0                         // initC
v_accvgpr_write acc77, 0x0                         // initC
v_accvgpr_write acc78, 0x0                         // initC
v_accvgpr_write acc79, 0x0                         // initC
v_accvgpr_write acc80, 0x0                         // initC
v_accvgpr_write acc81, 0x0                         // initC
v_accvgpr_write acc82, 0x0                         // initC
v_accvgpr_write acc83, 0x0                         // initC
v_accvgpr_write acc84, 0x0                         // initC
v_accvgpr_write acc85, 0x0                         // initC
v_accvgpr_write acc86, 0x0                         // initC
v_accvgpr_write acc87, 0x0                         // initC
v_accvgpr_write acc88, 0x0                         // initC
v_accvgpr_write acc89, 0x0                         // initC
v_accvgpr_write acc90, 0x0                         // initC
v_accvgpr_write acc91, 0x0                         // initC
v_accvgpr_write acc92, 0x0                         // initC
v_accvgpr_write acc93, 0x0                         // initC
v_accvgpr_write acc94, 0x0                         // initC
v_accvgpr_write acc95, 0x0                         // initC
v_accvgpr_write acc96, 0x0                         // initC
v_accvgpr_write acc97, 0x0                         // initC
v_accvgpr_write acc98, 0x0                         // initC
v_accvgpr_write acc99, 0x0                         // initC
v_accvgpr_write acc100, 0x0                        // initC
v_accvgpr_write acc101, 0x0                        // initC
v_accvgpr_write acc102, 0x0                        // initC
v_accvgpr_write acc103, 0x0                        // initC
v_accvgpr_write acc104, 0x0                        // initC
v_accvgpr_write acc105, 0x0                        // initC
v_accvgpr_write acc106, 0x0                        // initC
v_accvgpr_write acc107, 0x0                        // initC
v_accvgpr_write acc108, 0x0                        // initC
v_accvgpr_write acc109, 0x0                        // initC
v_accvgpr_write acc110, 0x0                        // initC
v_accvgpr_write acc111, 0x0                        // initC
v_accvgpr_write acc112, 0x0                        // initC
v_accvgpr_write acc113, 0x0                        // initC
v_accvgpr_write acc114, 0x0                        // initC
v_accvgpr_write acc115, 0x0                        // initC
v_accvgpr_write acc116, 0x0                        // initC
v_accvgpr_write acc117, 0x0                        // initC
v_accvgpr_write acc118, 0x0                        // initC
v_accvgpr_write acc119, 0x0                        // initC
v_accvgpr_write acc120, 0x0                        // initC
v_accvgpr_write acc121, 0x0                        // initC
v_accvgpr_write acc122, 0x0                        // initC
v_accvgpr_write acc123, 0x0                        // initC
v_accvgpr_write acc124, 0x0                        // initC
v_accvgpr_write acc125, 0x0                        // initC
v_accvgpr_write acc126, 0x0                        // initC
v_accvgpr_write acc127, 0x0                        // initC
v_accvgpr_write acc128, 0x0                        // initC
v_accvgpr_write acc129, 0x0                        // initC
v_accvgpr_write acc130, 0x0                        // initC
v_accvgpr_write acc131, 0x0                        // initC
v_accvgpr_write acc132, 0x0                        // initC
v_accvgpr_write acc133, 0x0                        // initC
v_accvgpr_write acc134, 0x0                        // initC
v_accvgpr_write acc135, 0x0                        // initC
v_accvgpr_write acc136, 0x0                        // initC
v_accvgpr_write acc137, 0x0                        // initC
v_accvgpr_write acc138, 0x0                        // initC
v_accvgpr_write acc139, 0x0                        // initC
v_accvgpr_write acc140, 0x0                        // initC
v_accvgpr_write acc141, 0x0                        // initC
v_accvgpr_write acc142, 0x0                        // initC
v_accvgpr_write acc143, 0x0                        // initC
v_accvgpr_write acc144, 0x0                        // initC
v_accvgpr_write acc145, 0x0                        // initC
v_accvgpr_write acc146, 0x0                        // initC
v_accvgpr_write acc147, 0x0                        // initC
v_accvgpr_write acc148, 0x0                        // initC
v_accvgpr_write acc149, 0x0                        // initC
v_accvgpr_write acc150, 0x0                        // initC
v_accvgpr_write acc151, 0x0                        // initC
v_accvgpr_write acc152, 0x0                        // initC
v_accvgpr_write acc153, 0x0                        // initC
v_accvgpr_write acc154, 0x0                        // initC
v_accvgpr_write acc155, 0x0                        // initC
v_accvgpr_write acc156, 0x0                        // initC
v_accvgpr_write acc157, 0x0                        // initC
v_accvgpr_write acc158, 0x0                        // initC
v_accvgpr_write acc159, 0x0                        // initC
v_accvgpr_write acc160, 0x0                        // initC
v_accvgpr_write acc161, 0x0                        // initC
v_accvgpr_write acc162, 0x0                        // initC
v_accvgpr_write acc163, 0x0                        // initC
v_accvgpr_write acc164, 0x0                        // initC
v_accvgpr_write acc165, 0x0                        // initC
v_accvgpr_write acc166, 0x0                        // initC
v_accvgpr_write acc167, 0x0                        // initC
v_accvgpr_write acc168, 0x0                        // initC
v_accvgpr_write acc169, 0x0                        // initC
v_accvgpr_write acc170, 0x0                        // initC
v_accvgpr_write acc171, 0x0                        // initC
v_accvgpr_write acc172, 0x0                        // initC
v_accvgpr_write acc173, 0x0                        // initC
v_accvgpr_write acc174, 0x0                        // initC
v_accvgpr_write acc175, 0x0                        // initC
v_accvgpr_write acc176, 0x0                        // initC
v_accvgpr_write acc177, 0x0                        // initC
v_accvgpr_write acc178, 0x0                        // initC
v_accvgpr_write acc179, 0x0                        // initC
v_accvgpr_write acc180, 0x0                        // initC
v_accvgpr_write acc181, 0x0                        // initC
v_accvgpr_write acc182, 0x0                        // initC
v_accvgpr_write acc183, 0x0                        // initC
v_accvgpr_write acc184, 0x0                        // initC
v_accvgpr_write acc185, 0x0                        // initC
v_accvgpr_write acc186, 0x0                        // initC
v_accvgpr_write acc187, 0x0                        // initC
v_accvgpr_write acc188, 0x0                        // initC
v_accvgpr_write acc189, 0x0                        // initC
v_accvgpr_write acc190, 0x0                        // initC
v_accvgpr_write acc191, 0x0                        // initC
v_accvgpr_write acc192, 0x0                        // initC
v_accvgpr_write acc193, 0x0                        // initC
v_accvgpr_write acc194, 0x0                        // initC
v_accvgpr_write acc195, 0x0                        // initC
v_accvgpr_write acc196, 0x0                        // initC
v_accvgpr_write acc197, 0x0                        // initC
v_accvgpr_write acc198, 0x0                        // initC
v_accvgpr_write acc199, 0x0                        // initC
v_accvgpr_write acc200, 0x0                        // initC
v_accvgpr_write acc201, 0x0                        // initC
v_accvgpr_write acc202, 0x0                        // initC
v_accvgpr_write acc203, 0x0                        // initC
v_accvgpr_write acc204, 0x0                        // initC
v_accvgpr_write acc205, 0x0                        // initC
v_accvgpr_write acc206, 0x0                        // initC
v_accvgpr_write acc207, 0x0                        // initC
v_accvgpr_write acc208, 0x0                        // initC
v_accvgpr_write acc209, 0x0                        // initC
v_accvgpr_write acc210, 0x0                        // initC
v_accvgpr_write acc211, 0x0                        // initC
v_accvgpr_write acc212, 0x0                        // initC
v_accvgpr_write acc213, 0x0                        // initC
v_accvgpr_write acc214, 0x0                        // initC
v_accvgpr_write acc215, 0x0                        // initC
v_accvgpr_write acc216, 0x0                        // initC
v_accvgpr_write acc217, 0x0                        // initC
v_accvgpr_write acc218, 0x0                        // initC
v_accvgpr_write acc219, 0x0                        // initC
v_accvgpr_write acc220, 0x0                        // initC
v_accvgpr_write acc221, 0x0                        // initC
v_accvgpr_write acc222, 0x0                        // initC
v_accvgpr_write acc223, 0x0                        // initC
v_accvgpr_write acc224, 0x0                        // initC
v_accvgpr_write acc225, 0x0                        // initC
v_accvgpr_write acc226, 0x0                        // initC
v_accvgpr_write acc227, 0x0                        // initC
v_accvgpr_write acc228, 0x0                        // initC
v_accvgpr_write acc229, 0x0                        // initC
v_accvgpr_write acc230, 0x0                        // initC
v_accvgpr_write acc231, 0x0                        // initC
v_accvgpr_write acc232, 0x0                        // initC
v_accvgpr_write acc233, 0x0                        // initC
v_accvgpr_write acc234, 0x0                        // initC
v_accvgpr_write acc235, 0x0                        // initC
v_accvgpr_write acc236, 0x0                        // initC
v_accvgpr_write acc237, 0x0                        // initC
v_accvgpr_write acc238, 0x0                        // initC
v_accvgpr_write acc239, 0x0                        // initC
v_accvgpr_write acc240, 0x0                        // initC
v_accvgpr_write acc241, 0x0                        // initC
v_accvgpr_write acc242, 0x0                        // initC
v_accvgpr_write acc243, 0x0                        // initC
v_accvgpr_write acc244, 0x0                        // initC
v_accvgpr_write acc245, 0x0                        // initC
v_accvgpr_write acc246, 0x0                        // initC
v_accvgpr_write acc247, 0x0                        // initC
v_accvgpr_write acc248, 0x0                        // initC
v_accvgpr_write acc249, 0x0                        // initC
v_accvgpr_write acc250, 0x0                        // initC
v_accvgpr_write acc251, 0x0                        // initC
v_accvgpr_write acc252, 0x0                        // initC
v_accvgpr_write acc253, 0x0                        // initC
v_accvgpr_write acc254, 0x0                        // initC
v_accvgpr_write acc255, 0x0                        // initC

s_cmp_eq_u32 s[sgprLoopCounterL], 0                // at last iteration?

/* after InitC, skip to end of prefetch last iter if numIter==0 */
s_cbranch_scc0 label_NoBranch_11                   // Only branch on scc1
s_getpc_B64 s[32:33]                               // addr of next instr
s_add_i32 s34, PrefetchGlobalLastIterEnd_5, 0x4    // target branch offset
s_add_u32 s32, s32, s34                            // add target branch offset
s_addc_u32 s33, s33, 0                             // add high and carry
s_setpc_b64 s[32:33]                               // branch to PrefetchGlobalLastIterEnd_5
label_NoBranch_11:

s_waitcnt vmcnt(0)                                 // lgkmcnt=-1 vmcnt=0 8wait for global read


/* local write a */
_ds_store_b64 v[vgprLocalWriteAddrA], v[vgprG2LA+0:vgprG2LA+0+1] offset:0 // lwoA_0_0_0_0 = (0*LSCA) + (0*LSPA)(*MT0I+PAD) = 0
_ds_store_b64 v[vgprLocalWriteAddrA], v[vgprG2LA+2:vgprG2LA+2+1] offset:512 // lwoA_0_0_1_0 = (0*LSCA) + (1*LSPA)(*MT0I+PAD) = 512
_ds_store_b64 v[vgprLocalWriteAddrA], v[vgprG2LA+4:vgprG2LA+4+1] offset:1024 // lwoA_0_0_2_0 = (0*LSCA) + (2*LSPA)(*MT0I+PAD) = 1024
_ds_store_b64 v[vgprLocalWriteAddrA], v[vgprG2LA+6:vgprG2LA+6+1] offset:1536 // lwoA_0_0_3_0 = (0*LSCA) + (3*LSPA)(*MT0I+PAD) = 1536

/* local write b */
_ds_store_b64 v[vgprLocalWriteAddrB], v[vgprG2LB+0:vgprG2LB+0+1] offset:0 // lwoB_0_0_0_0 = (0*LSCB) + (0*LSPB)(*MT1J+PAD) = 0
_ds_store_b64 v[vgprLocalWriteAddrB], v[vgprG2LB+2:vgprG2LB+2+1] offset:512 // lwoB_0_0_1_0 = (0*LSCB) + (1*LSPB)(*MT1J+PAD) = 512
_ds_store_b64 v[vgprLocalWriteAddrB], v[vgprG2LB+4:vgprG2LB+4+1] offset:1024 // lwoB_0_0_2_0 = (0*LSCB) + (2*LSPB)(*MT1J+PAD) = 1024
_ds_store_b64 v[vgprLocalWriteAddrB], v[vgprG2LB+6:vgprG2LB+6+1] offset:1536 // lwoB_0_0_3_0 = (0*LSCB) + (3*LSPB)(*MT1J+PAD) = 1536


/* local write swap a */


/* (EPS=1) local write swap internal offset -> 16384 */


/* local write swap b */


/* (EPS=1) local write swap internal offset -> 16384 */


	;; [unrolled: 1-line block ×3, first 2 shown]
s_waitcnt lgkmcnt(0)                               // lgkmcnt=0 vmcnt=-10prefetch wait for local write

s_waitcnt lgkmcnt(0) & vmcnt(0)                    // force waitcnt0
s_barrier //


/* local read prefetch a */

_ds_load_u8 v[vgprValuA_X0_I0+0], v[vgprLocalReadAddrA] offset:0 // L -> Reg lro=0 swapByteOffset=0 ti=128 vIdx=0 rIdx=0 oIdx=0 buffer=0 iui=0
_ds_load_u8 v49, v[vgprLocalReadAddrA] offset:256  // L -> Reg lro=0 swapByteOffset=0 ti=128 vIdx=0 rIdx=1 oIdx=0 buffer=0 iui=0
_ds_load_u8_d16_hi v50, v[vgprLocalReadAddrA] offset:512 // L -> Reg lro=0 swapByteOffset=0 ti=128 vIdx=0 rIdx=2 oIdx=0 buffer=0 iui=0
_ds_load_u8_d16_hi v51, v[vgprLocalReadAddrA] offset:768 // L -> Reg lro=0 swapByteOffset=0 ti=128 vIdx=0 rIdx=3 oIdx=0 buffer=0 iui=0
_ds_load_u8 v[vgprValuA_X0_I0+1], v[vgprLocalReadAddrA] offset:128 // L -> Reg lro=0 swapByteOffset=0 ti=128 vIdx=1 rIdx=0 oIdx=0 buffer=0 iui=0
_ds_load_u8 v52, v[vgprLocalReadAddrA] offset:384  // L -> Reg lro=0 swapByteOffset=0 ti=128 vIdx=1 rIdx=1 oIdx=0 buffer=0 iui=0
_ds_load_u8_d16_hi v53, v[vgprLocalReadAddrA] offset:640 // L -> Reg lro=0 swapByteOffset=0 ti=128 vIdx=1 rIdx=2 oIdx=0 buffer=0 iui=0
_ds_load_u8_d16_hi v54, v[vgprLocalReadAddrA] offset:896 // L -> Reg lro=0 swapByteOffset=0 ti=128 vIdx=1 rIdx=3 oIdx=0 buffer=0 iui=0


/* local read prefetch b */

_ds_load_u8 v[vgprValuB_X0_I0+0], v[vgprLocalReadAddrB] offset:0 // L -> Reg lro=0 swapByteOffset=0 ti=32 vIdx=0 rIdx=0 oIdx=0 buffer=0 iui=0
_ds_load_u8 v55, v[vgprLocalReadAddrB] offset:256  // L -> Reg lro=0 swapByteOffset=0 ti=32 vIdx=0 rIdx=1 oIdx=0 buffer=0 iui=0
_ds_load_u8_d16_hi v56, v[vgprLocalReadAddrB] offset:512 // L -> Reg lro=0 swapByteOffset=0 ti=32 vIdx=0 rIdx=2 oIdx=0 buffer=0 iui=0
_ds_load_u8_d16_hi v57, v[vgprLocalReadAddrB] offset:768 // L -> Reg lro=0 swapByteOffset=0 ti=32 vIdx=0 rIdx=3 oIdx=0 buffer=0 iui=0
_ds_load_u8 v[vgprValuB_X0_I0+1], v[vgprLocalReadAddrB] offset:32 // L -> Reg lro=0 swapByteOffset=0 ti=32 vIdx=1 rIdx=0 oIdx=0 buffer=0 iui=0
_ds_load_u8 v58, v[vgprLocalReadAddrB] offset:288  // L -> Reg lro=0 swapByteOffset=0 ti=32 vIdx=1 rIdx=1 oIdx=0 buffer=0 iui=0
_ds_load_u8_d16_hi v59, v[vgprLocalReadAddrB] offset:544 // L -> Reg lro=0 swapByteOffset=0 ti=32 vIdx=1 rIdx=2 oIdx=0 buffer=0 iui=0
_ds_load_u8_d16_hi v60, v[vgprLocalReadAddrB] offset:800 // L -> Reg lro=0 swapByteOffset=0 ti=32 vIdx=1 rIdx=3 oIdx=0 buffer=0 iui=0
	;; [unrolled: 4-line block ×8, first 2 shown]


/* local read inc a */

/* N/A, lro->2048 */
/* self.localReadDoCntA 1 self.localReadDoCntB 1 */


/* local read inc b */

/* N/A, lro->2048 */
/* self.localReadDoCntA 1 self.localReadDoCntB 1 */


	;; [unrolled: 1-line block ×3, first 2 shown]
/******************************************/
/* Unrolled Loop(s) - Begin               */
/******************************************/

openLoopL_12:
s_cmp_le_u32 s[sgprLoopCounterL], 0x1              // LoopCounterL < EndCounter
s_cbranch_scc1 LoopEndL_2                          // do not enter LoopL
LoopBeginL_1:


/******************************************/
/* Unrolled Loop 1/2 - Begin              */
/******************************************/

label_0013: // LoopCopy1 


/* Begin Each Unroll: Check VGPR.checkin for INT8 LW */


	;; [unrolled: 1-line block ×3, first 2 shown]
/* iter 0 */

/*  grEndMfmaIndex:7, lwStartMfmaIndex:47, lwEndMfmaIndex:54  */
/*  numMfmaForLR:7, barrierMfmaIndex:56 */
/*  mfmaIndex:0  */
_buffer_load_b64 v[vgprG2LA+0:vgprG2LA+0+1], v[vgprGlobalReadOffsetA+0], s[sgprSrdA:sgprSrdA+3], 0, offen offset:0 // G -> Reg 0_0_0_0
s_waitcnt lgkmcnt(0)                               // lgkmcnt=0 vmcnt=-1wait for prior local read local write old=0, new=0 newLW=0 newLR=0
/* pack scheduling: packAIdx:3, packBIdx:3 */
_v_lshl_or_b32 v[vgprValuA_X0_I0+0], v49, 0x8, v[vgprValuA_X0_I0+0] // pack two int8 Vgpr to one half Vgpr
_v_lshl_or_b32 v50, v51, 0x8, v50                  // pack two int8 Vgpr to one half Vgpr
v_or_b32 v[vgprValuA_X0_I0+0], v[vgprValuA_X0_I0+0], v50 // pack two half Vgpr to one Vgpr
_v_lshl_or_b32 v[vgprValuB_X0_I0+0], v55, 0x8, v[vgprValuB_X0_I0+0] // pack two int8 Vgpr to one half Vgpr
_v_lshl_or_b32 v56, v57, 0x8, v56                  // pack two int8 Vgpr to one half Vgpr
v_or_b32 v[vgprValuB_X0_I0+0], v[vgprValuB_X0_I0+0], v56 // pack two half Vgpr to one Vgpr
_v_lshl_or_b32 v[vgprValuA_X0_I0+1], v52, 0x8, v[vgprValuA_X0_I0+1] // pack two int8 Vgpr to one half Vgpr
_v_lshl_or_b32 v53, v54, 0x8, v53                  // pack two int8 Vgpr to one half Vgpr
v_or_b32 v[vgprValuA_X0_I0+1], v[vgprValuA_X0_I0+1], v53 // pack two half Vgpr to one Vgpr
v_mfma_i32_32x32x8i8 a[0+0:15+0], v[vgprValuA_X0_I0+0+0+0], v[vgprValuB_X0_I0+0+0+0], a[0:15]
/*  mfmaIndex:1  */
_ds_load_u8 v[vgprValuA_X1_I0+0], v[vgprLocalReadAddrA] offset:2048 // L -> Reg lro=2048 swapByteOffset=0 ti=128 vIdx=0 rIdx=0 oIdx=0 buffer=1 iui=0
_ds_load_u8 v79, v[vgprLocalReadAddrA] offset:2304 // L -> Reg lro=2048 swapByteOffset=0 ti=128 vIdx=0 rIdx=1 oIdx=0 buffer=1 iui=0
_ds_load_u8_d16_hi v80, v[vgprLocalReadAddrA] offset:2560 // L -> Reg lro=2048 swapByteOffset=0 ti=128 vIdx=0 rIdx=2 oIdx=0 buffer=1 iui=0
_ds_load_u8_d16_hi v81, v[vgprLocalReadAddrA] offset:2816 // L -> Reg lro=2048 swapByteOffset=0 ti=128 vIdx=0 rIdx=3 oIdx=0 buffer=1 iui=0
_ds_load_u8 v[vgprValuB_X1_I0+0], v[vgprLocalReadAddrB] offset:2048 // L -> Reg lro=2048 swapByteOffset=0 ti=32 vIdx=0 rIdx=0 oIdx=0 buffer=1 iui=0
_ds_load_u8 v85, v[vgprLocalReadAddrB] offset:2304 // L -> Reg lro=2048 swapByteOffset=0 ti=32 vIdx=0 rIdx=1 oIdx=0 buffer=1 iui=0
_buffer_load_b64 v[vgprG2LA+2:vgprG2LA+2+1], v[vgprGlobalReadOffsetA+1], s[sgprSrdA:sgprSrdA+3], 0, offen offset:0 // G -> Reg 0_0_1_0
/* pack scheduling: packAIdx:6, packBIdx:3 */
_v_lshl_or_b32 v[vgprValuB_X0_I0+1], v58, 0x8, v[vgprValuB_X0_I0+1] // pack two int8 Vgpr to one half Vgpr
_v_lshl_or_b32 v59, v60, 0x8, v59                  // pack two int8 Vgpr to one half Vgpr
v_or_b32 v[vgprValuB_X0_I0+1], v[vgprValuB_X0_I0+1], v59 // pack two half Vgpr to one Vgpr
_v_lshl_or_b32 v[vgprValuB_X0_I0+2], v61, 0x8, v[vgprValuB_X0_I0+2] // pack two int8 Vgpr to one half Vgpr
_v_lshl_or_b32 v62, v63, 0x8, v62                  // pack two int8 Vgpr to one half Vgpr
v_or_b32 v[vgprValuB_X0_I0+2], v[vgprValuB_X0_I0+2], v62 // pack two half Vgpr to one Vgpr
v_mfma_i32_32x32x8i8 a[16+0:31+0], v[vgprValuA_X0_I0+1+0+0], v[vgprValuB_X0_I0+0+0+0], a[16:31]
/*  mfmaIndex:2  */
_ds_load_u8_d16_hi v86, v[vgprLocalReadAddrB] offset:2560 // L -> Reg lro=2048 swapByteOffset=0 ti=32 vIdx=0 rIdx=2 oIdx=0 buffer=1 iui=0
_ds_load_u8_d16_hi v87, v[vgprLocalReadAddrB] offset:2816 // L -> Reg lro=2048 swapByteOffset=0 ti=32 vIdx=0 rIdx=3 oIdx=0 buffer=1 iui=0
_ds_load_u8 v[vgprValuA_X1_I0+1], v[vgprLocalReadAddrA] offset:2176 // L -> Reg lro=2048 swapByteOffset=0 ti=128 vIdx=1 rIdx=0 oIdx=0 buffer=1 iui=0
_ds_load_u8 v82, v[vgprLocalReadAddrA] offset:2432 // L -> Reg lro=2048 swapByteOffset=0 ti=128 vIdx=1 rIdx=1 oIdx=0 buffer=1 iui=0
_ds_load_u8_d16_hi v83, v[vgprLocalReadAddrA] offset:2688 // L -> Reg lro=2048 swapByteOffset=0 ti=128 vIdx=1 rIdx=2 oIdx=0 buffer=1 iui=0
_ds_load_u8_d16_hi v84, v[vgprLocalReadAddrA] offset:2944 // L -> Reg lro=2048 swapByteOffset=0 ti=128 vIdx=1 rIdx=3 oIdx=0 buffer=1 iui=0
_buffer_load_b64 v[vgprG2LA+4:vgprG2LA+4+1], v[vgprGlobalReadOffsetA+2], s[sgprSrdA:sgprSrdA+3], 0, offen offset:0 // G -> Reg 0_0_2_0
/* pack scheduling: packAIdx:6, packBIdx:6 */
_v_lshl_or_b32 v[vgprValuB_X0_I0+3], v64, 0x8, v[vgprValuB_X0_I0+3] // pack two int8 Vgpr to one half Vgpr
_v_lshl_or_b32 v65, v66, 0x8, v65                  // pack two int8 Vgpr to one half Vgpr
v_or_b32 v[vgprValuB_X0_I0+3], v[vgprValuB_X0_I0+3], v65 // pack two half Vgpr to one Vgpr
_v_lshl_or_b32 v[vgprValuB_X0_I0+4], v67, 0x8, v[vgprValuB_X0_I0+4] // pack two int8 Vgpr to one half Vgpr
_v_lshl_or_b32 v68, v69, 0x8, v68                  // pack two int8 Vgpr to one half Vgpr
v_or_b32 v[vgprValuB_X0_I0+4], v[vgprValuB_X0_I0+4], v68 // pack two half Vgpr to one Vgpr
v_mfma_i32_32x32x8i8 a[48+0:63+0], v[vgprValuA_X0_I0+1+0+0], v[vgprValuB_X0_I0+1+0+0], a[48:63]
/*  mfmaIndex:3  */
_ds_load_u8 v[vgprValuB_X1_I0+1], v[vgprLocalReadAddrB] offset:2080 // L -> Reg lro=2048 swapByteOffset=0 ti=32 vIdx=1 rIdx=0 oIdx=0 buffer=1 iui=0
_ds_load_u8 v88, v[vgprLocalReadAddrB] offset:2336 // L -> Reg lro=2048 swapByteOffset=0 ti=32 vIdx=1 rIdx=1 oIdx=0 buffer=1 iui=0
_ds_load_u8_d16_hi v89, v[vgprLocalReadAddrB] offset:2592 // L -> Reg lro=2048 swapByteOffset=0 ti=32 vIdx=1 rIdx=2 oIdx=0 buffer=1 iui=0
_ds_load_u8_d16_hi v90, v[vgprLocalReadAddrB] offset:2848 // L -> Reg lro=2048 swapByteOffset=0 ti=32 vIdx=1 rIdx=3 oIdx=0 buffer=1 iui=0
_ds_load_u8 v[vgprValuB_X1_I0+2], v[vgprLocalReadAddrB] offset:2112 // L -> Reg lro=2048 swapByteOffset=0 ti=32 vIdx=2 rIdx=0 oIdx=0 buffer=1 iui=0
_ds_load_u8 v91, v[vgprLocalReadAddrB] offset:2368 // L -> Reg lro=2048 swapByteOffset=0 ti=32 vIdx=2 rIdx=1 oIdx=0 buffer=1 iui=0
_buffer_load_b64 v[vgprG2LA+6:vgprG2LA+6+1], v[vgprGlobalReadOffsetA+3], s[sgprSrdA:sgprSrdA+3], 0, offen offset:0 // G -> Reg 0_0_3_0
/* pack scheduling: packAIdx:6, packBIdx:6 */
_v_lshl_or_b32 v[vgprValuB_X0_I0+5], v70, 0x8, v[vgprValuB_X0_I0+5] // pack two int8 Vgpr to one half Vgpr
_v_lshl_or_b32 v71, v72, 0x8, v71                  // pack two int8 Vgpr to one half Vgpr
v_or_b32 v[vgprValuB_X0_I0+5], v[vgprValuB_X0_I0+5], v71 // pack two half Vgpr to one Vgpr
_v_lshl_or_b32 v[vgprValuB_X0_I0+6], v73, 0x8, v[vgprValuB_X0_I0+6] // pack two int8 Vgpr to one half Vgpr
_v_lshl_or_b32 v74, v75, 0x8, v74                  // pack two int8 Vgpr to one half Vgpr
v_or_b32 v[vgprValuB_X0_I0+6], v[vgprValuB_X0_I0+6], v74 // pack two half Vgpr to one Vgpr
v_mfma_i32_32x32x8i8 a[32+0:47+0], v[vgprValuA_X0_I0+0+0+0], v[vgprValuB_X0_I0+1+0+0], a[32:47]
/*  mfmaIndex:4  */
_ds_load_u8_d16_hi v92, v[vgprLocalReadAddrB] offset:2624 // L -> Reg lro=2048 swapByteOffset=0 ti=32 vIdx=2 rIdx=2 oIdx=0 buffer=1 iui=0
_ds_load_u8_d16_hi v93, v[vgprLocalReadAddrB] offset:2880 // L -> Reg lro=2048 swapByteOffset=0 ti=32 vIdx=2 rIdx=3 oIdx=0 buffer=1 iui=0
_ds_load_u8 v[vgprValuB_X1_I0+3], v[vgprLocalReadAddrB] offset:2144 // L -> Reg lro=2048 swapByteOffset=0 ti=32 vIdx=3 rIdx=0 oIdx=0 buffer=1 iui=0
_ds_load_u8 v94, v[vgprLocalReadAddrB] offset:2400 // L -> Reg lro=2048 swapByteOffset=0 ti=32 vIdx=3 rIdx=1 oIdx=0 buffer=1 iui=0
_ds_load_u8_d16_hi v95, v[vgprLocalReadAddrB] offset:2656 // L -> Reg lro=2048 swapByteOffset=0 ti=32 vIdx=3 rIdx=2 oIdx=0 buffer=1 iui=0
_ds_load_u8_d16_hi v96, v[vgprLocalReadAddrB] offset:2912 // L -> Reg lro=2048 swapByteOffset=0 ti=32 vIdx=3 rIdx=3 oIdx=0 buffer=1 iui=0
_buffer_load_b64 v[vgprG2LB+0:vgprG2LB+0+1], v[vgprGlobalReadOffsetB+0], s[sgprSrdB:sgprSrdB+3], 0, offen offset:0 // G -> Reg 0_0_0_0
/* pack scheduling: packAIdx:6, packBIdx:9 */
_v_lshl_or_b32 v[vgprValuB_X0_I0+7], v76, 0x8, v[vgprValuB_X0_I0+7] // pack two int8 Vgpr to one half Vgpr
_v_lshl_or_b32 v77, v78, 0x8, v77                  // pack two int8 Vgpr to one half Vgpr
v_or_b32 v[vgprValuB_X0_I0+7], v[vgprValuB_X0_I0+7], v77 // pack two half Vgpr to one Vgpr
v_mfma_i32_32x32x8i8 a[64+0:79+0], v[vgprValuA_X0_I0+0+0+0], v[vgprValuB_X0_I0+2+0+0], a[64:79]
/*  mfmaIndex:5  */
_ds_load_u8 v[vgprValuB_X1_I0+4], v[vgprLocalReadAddrB] offset:2176 // L -> Reg lro=2048 swapByteOffset=0 ti=32 vIdx=4 rIdx=0 oIdx=0 buffer=1 iui=0
_ds_load_u8 v97, v[vgprLocalReadAddrB] offset:2432 // L -> Reg lro=2048 swapByteOffset=0 ti=32 vIdx=4 rIdx=1 oIdx=0 buffer=1 iui=0
_ds_load_u8_d16_hi v98, v[vgprLocalReadAddrB] offset:2688 // L -> Reg lro=2048 swapByteOffset=0 ti=32 vIdx=4 rIdx=2 oIdx=0 buffer=1 iui=0
_ds_load_u8_d16_hi v99, v[vgprLocalReadAddrB] offset:2944 // L -> Reg lro=2048 swapByteOffset=0 ti=32 vIdx=4 rIdx=3 oIdx=0 buffer=1 iui=0
_ds_load_u8 v[vgprValuB_X1_I0+5], v[vgprLocalReadAddrB] offset:2208 // L -> Reg lro=2048 swapByteOffset=0 ti=32 vIdx=5 rIdx=0 oIdx=0 buffer=1 iui=0
_ds_load_u8 v100, v[vgprLocalReadAddrB] offset:2464 // L -> Reg lro=2048 swapByteOffset=0 ti=32 vIdx=5 rIdx=1 oIdx=0 buffer=1 iui=0
_buffer_load_b64 v[vgprG2LB+2:vgprG2LB+2+1], v[vgprGlobalReadOffsetB+1], s[sgprSrdB:sgprSrdB+3], 0, offen offset:0 // G -> Reg 0_0_1_0
v_mfma_i32_32x32x8i8 a[80+0:95+0], v[vgprValuA_X0_I0+1+0+0], v[vgprValuB_X0_I0+2+0+0], a[80:95]
/*  mfmaIndex:6  */
_ds_load_u8_d16_hi v101, v[vgprLocalReadAddrB] offset:2720 // L -> Reg lro=2048 swapByteOffset=0 ti=32 vIdx=5 rIdx=2 oIdx=0 buffer=1 iui=0
_ds_load_u8_d16_hi v102, v[vgprLocalReadAddrB] offset:2976 // L -> Reg lro=2048 swapByteOffset=0 ti=32 vIdx=5 rIdx=3 oIdx=0 buffer=1 iui=0
_ds_load_u8 v[vgprValuB_X1_I0+6], v[vgprLocalReadAddrB] offset:2240 // L -> Reg lro=2048 swapByteOffset=0 ti=32 vIdx=6 rIdx=0 oIdx=0 buffer=1 iui=0
_ds_load_u8 v103, v[vgprLocalReadAddrB] offset:2496 // L -> Reg lro=2048 swapByteOffset=0 ti=32 vIdx=6 rIdx=1 oIdx=0 buffer=1 iui=0
_ds_load_u8_d16_hi v104, v[vgprLocalReadAddrB] offset:2752 // L -> Reg lro=2048 swapByteOffset=0 ti=32 vIdx=6 rIdx=2 oIdx=0 buffer=1 iui=0
_ds_load_u8_d16_hi v105, v[vgprLocalReadAddrB] offset:3008 // L -> Reg lro=2048 swapByteOffset=0 ti=32 vIdx=6 rIdx=3 oIdx=0 buffer=1 iui=0
_buffer_load_b64 v[vgprG2LB+4:vgprG2LB+4+1], v[vgprGlobalReadOffsetB+2], s[sgprSrdB:sgprSrdB+3], 0, offen offset:0 // G -> Reg 0_0_2_0
v_mfma_i32_32x32x8i8 a[112+0:127+0], v[vgprValuA_X0_I0+1+0+0], v[vgprValuB_X0_I0+3+0+0], a[112:127]
/*  mfmaIndex:7  */
_ds_load_u8 v[vgprValuB_X1_I0+7], v[vgprLocalReadAddrB] offset:2272 // L -> Reg lro=2048 swapByteOffset=0 ti=32 vIdx=7 rIdx=0 oIdx=0 buffer=1 iui=0
_ds_load_u8 v106, v[vgprLocalReadAddrB] offset:2528 // L -> Reg lro=2048 swapByteOffset=0 ti=32 vIdx=7 rIdx=1 oIdx=0 buffer=1 iui=0
_ds_load_u8_d16_hi v107, v[vgprLocalReadAddrB] offset:2784 // L -> Reg lro=2048 swapByteOffset=0 ti=32 vIdx=7 rIdx=2 oIdx=0 buffer=1 iui=0
_ds_load_u8_d16_hi v108, v[vgprLocalReadAddrB] offset:3040 // L -> Reg lro=2048 swapByteOffset=0 ti=32 vIdx=7 rIdx=3 oIdx=0 buffer=1 iui=0
/* localReadsVacancy: latencyLeft 5 */
_buffer_load_b64 v[vgprG2LB+6:vgprG2LB+6+1], v[vgprGlobalReadOffsetB+3], s[sgprSrdB:sgprSrdB+3], 0, offen offset:0 // G -> Reg 0_0_3_0
v_mfma_i32_32x32x8i8 a[96+0:111+0], v[vgprValuA_X0_I0+0+0+0], v[vgprValuB_X0_I0+3+0+0], a[96:111]
/*  mfmaIndex:8  */
/* localReadsVacancy: latencyLeft 13 */

/* global read inc A loopL */
s_add_u32 s[sgprSrdA+0], s[sgprSrdA+0], s[sgprGlobalReadIncsA+0] // gra SRD += inc(lower)
s_addc_u32  s[sgprSrdA+1], s[sgprSrdA+1], 0        // gra SRD += inc(upper)
s_sub_u32 s[sgprShadowLimitA+0], s[sgprShadowLimitA+0], s[sgprGlobalReadIncsA+0] // limit -= inc)
s_subb_u32 s[sgprShadowLimitA+1], s[sgprShadowLimitA+1], 0 // limit -= inc)
s_cmp_eq_u32 s[sgprShadowLimitA+1], 0              // are we within 2^32?
s_cmov_b32 s[sgprSrdA+2], s[sgprShadowLimitA+0]    // Move shadow to real if we are within 2^32

/* global read inc B loopL */
s_add_u32 s[sgprSrdB+0], s[sgprSrdB+0], s[sgprGlobalReadIncsB+0] // gra SRD += inc(lower)
v_mfma_i32_32x32x8i8 a[128+0:143+0], v[vgprValuA_X0_I0+0+0+0], v[vgprValuB_X0_I0+4+0+0], a[128:143]
/*  mfmaIndex:9  */
/* localReadsVacancy: latencyLeft 13 */
s_addc_u32  s[sgprSrdB+1], s[sgprSrdB+1], 0        // gra SRD += inc(upper)
s_sub_u32 s[sgprShadowLimitB+0], s[sgprShadowLimitB+0], s[sgprGlobalReadIncsB+0] // limit -= inc)
s_subb_u32 s[sgprShadowLimitB+1], s[sgprShadowLimitB+1], 0 // limit -= inc)
s_cmp_eq_u32 s[sgprShadowLimitB+1], 0              // are we within 2^32?
s_cmov_b32 s[sgprSrdB+2], s[sgprShadowLimitB+0]    // Move shadow to real if we are within 2^32
v_mfma_i32_32x32x8i8 a[144+0:159+0], v[vgprValuA_X0_I0+1+0+0], v[vgprValuB_X0_I0+4+0+0], a[144:159]
/*  mfmaIndex:10  */
/* localReadsVacancy: latencyLeft 13 */
v_mfma_i32_32x32x8i8 a[176+0:191+0], v[vgprValuA_X0_I0+1+0+0], v[vgprValuB_X0_I0+5+0+0], a[176:191]
/*  mfmaIndex:11  */
/* localReadsVacancy: latencyLeft 13 */
	;; [unrolled: 3-line block ×6, first 2 shown]
v_mfma_i32_32x32x8i8 a[224+0:239+0], v[vgprValuA_X0_I0+0+0+0], v[vgprValuB_X0_I0+7+0+0], a[224:239]
/* numPrefetchIter=0 */
/* dataAtIterA=-1 numReadsIterA=1 skipReadsIterA=1 readsPerIterA=8 */
/* dataAtIterB=-1 numReadsIterB=1 skipReadsIterB=1 readsPerIterB=32 */


/* iter 1 */

/*  grEndMfmaIndex:7, lwStartMfmaIndex:47, lwEndMfmaIndex:54  */
/*  numMfmaForLR:7, barrierMfmaIndex:56 */
/*  mfmaIndex:16  */
_ds_load_u8 v[vgprValuA_X0_I0+0], v[vgprLocalReadAddrA] offset:4096 // L -> Reg lro=4096 swapByteOffset=0 ti=128 vIdx=0 rIdx=0 oIdx=0 buffer=0 iui=0
_ds_load_u8 v49, v[vgprLocalReadAddrA] offset:4352 // L -> Reg lro=4096 swapByteOffset=0 ti=128 vIdx=0 rIdx=1 oIdx=0 buffer=0 iui=0
_ds_load_u8_d16_hi v50, v[vgprLocalReadAddrA] offset:4608 // L -> Reg lro=4096 swapByteOffset=0 ti=128 vIdx=0 rIdx=2 oIdx=0 buffer=0 iui=0
_ds_load_u8_d16_hi v51, v[vgprLocalReadAddrA] offset:4864 // L -> Reg lro=4096 swapByteOffset=0 ti=128 vIdx=0 rIdx=3 oIdx=0 buffer=0 iui=0
_ds_load_u8 v[vgprValuB_X0_I0+0], v[vgprLocalReadAddrB] offset:4096 // L -> Reg lro=4096 swapByteOffset=0 ti=32 vIdx=0 rIdx=0 oIdx=0 buffer=0 iui=0
_ds_load_u8 v55, v[vgprLocalReadAddrB] offset:4352 // L -> Reg lro=4096 swapByteOffset=0 ti=32 vIdx=0 rIdx=1 oIdx=0 buffer=0 iui=0
s_waitcnt lgkmcnt(6)                               // lgkmcnt=0 vmcnt=-1wait for prior local read local write old=0, new=6 newLW=0 newLR=6
/* pack scheduling: packAIdx:3, packBIdx:3 */
_v_lshl_or_b32 v[vgprValuA_X1_I0+0], v79, 0x8, v[vgprValuA_X1_I0+0] // pack two int8 Vgpr to one half Vgpr
_v_lshl_or_b32 v80, v81, 0x8, v80                  // pack two int8 Vgpr to one half Vgpr
v_or_b32 v[vgprValuA_X1_I0+0], v[vgprValuA_X1_I0+0], v80 // pack two half Vgpr to one Vgpr
_v_lshl_or_b32 v[vgprValuB_X1_I0+0], v85, 0x8, v[vgprValuB_X1_I0+0] // pack two int8 Vgpr to one half Vgpr
_v_lshl_or_b32 v86, v87, 0x8, v86                  // pack two int8 Vgpr to one half Vgpr
v_or_b32 v[vgprValuB_X1_I0+0], v[vgprValuB_X1_I0+0], v86 // pack two half Vgpr to one Vgpr
_v_lshl_or_b32 v[vgprValuA_X1_I0+1], v82, 0x8, v[vgprValuA_X1_I0+1] // pack two int8 Vgpr to one half Vgpr
_v_lshl_or_b32 v83, v84, 0x8, v83                  // pack two int8 Vgpr to one half Vgpr
v_or_b32 v[vgprValuA_X1_I0+1], v[vgprValuA_X1_I0+1], v83 // pack two half Vgpr to one Vgpr
v_mfma_i32_32x32x8i8 a[0+0:15+0], v[vgprValuA_X1_I0+0+0+0], v[vgprValuB_X1_I0+0+0+0], a[0:15]
/*  mfmaIndex:17  */
_ds_load_u8_d16_hi v56, v[vgprLocalReadAddrB] offset:4608 // L -> Reg lro=4096 swapByteOffset=0 ti=32 vIdx=0 rIdx=2 oIdx=0 buffer=0 iui=0
_ds_load_u8_d16_hi v57, v[vgprLocalReadAddrB] offset:4864 // L -> Reg lro=4096 swapByteOffset=0 ti=32 vIdx=0 rIdx=3 oIdx=0 buffer=0 iui=0
_ds_load_u8 v[vgprValuA_X0_I0+1], v[vgprLocalReadAddrA] offset:4224 // L -> Reg lro=4096 swapByteOffset=0 ti=128 vIdx=1 rIdx=0 oIdx=0 buffer=0 iui=0
_ds_load_u8 v52, v[vgprLocalReadAddrA] offset:4480 // L -> Reg lro=4096 swapByteOffset=0 ti=128 vIdx=1 rIdx=1 oIdx=0 buffer=0 iui=0
_ds_load_u8_d16_hi v53, v[vgprLocalReadAddrA] offset:4736 // L -> Reg lro=4096 swapByteOffset=0 ti=128 vIdx=1 rIdx=2 oIdx=0 buffer=0 iui=0
_ds_load_u8_d16_hi v54, v[vgprLocalReadAddrA] offset:4992 // L -> Reg lro=4096 swapByteOffset=0 ti=128 vIdx=1 rIdx=3 oIdx=0 buffer=0 iui=0
/* pack scheduling: packAIdx:6, packBIdx:3 */
_v_lshl_or_b32 v[vgprValuB_X1_I0+1], v88, 0x8, v[vgprValuB_X1_I0+1] // pack two int8 Vgpr to one half Vgpr
_v_lshl_or_b32 v89, v90, 0x8, v89                  // pack two int8 Vgpr to one half Vgpr
v_or_b32 v[vgprValuB_X1_I0+1], v[vgprValuB_X1_I0+1], v89 // pack two half Vgpr to one Vgpr
_v_lshl_or_b32 v[vgprValuB_X1_I0+2], v91, 0x8, v[vgprValuB_X1_I0+2] // pack two int8 Vgpr to one half Vgpr
_v_lshl_or_b32 v92, v93, 0x8, v92                  // pack two int8 Vgpr to one half Vgpr
v_or_b32 v[vgprValuB_X1_I0+2], v[vgprValuB_X1_I0+2], v92 // pack two half Vgpr to one Vgpr
v_mfma_i32_32x32x8i8 a[16+0:31+0], v[vgprValuA_X1_I0+1+0+0], v[vgprValuB_X1_I0+0+0+0], a[16:31]
/*  mfmaIndex:18  */
_ds_load_u8 v[vgprValuB_X0_I0+1], v[vgprLocalReadAddrB] offset:4128 // L -> Reg lro=4096 swapByteOffset=0 ti=32 vIdx=1 rIdx=0 oIdx=0 buffer=0 iui=0
_ds_load_u8 v58, v[vgprLocalReadAddrB] offset:4384 // L -> Reg lro=4096 swapByteOffset=0 ti=32 vIdx=1 rIdx=1 oIdx=0 buffer=0 iui=0
_ds_load_u8_d16_hi v59, v[vgprLocalReadAddrB] offset:4640 // L -> Reg lro=4096 swapByteOffset=0 ti=32 vIdx=1 rIdx=2 oIdx=0 buffer=0 iui=0
_ds_load_u8_d16_hi v60, v[vgprLocalReadAddrB] offset:4896 // L -> Reg lro=4096 swapByteOffset=0 ti=32 vIdx=1 rIdx=3 oIdx=0 buffer=0 iui=0
_ds_load_u8 v[vgprValuB_X0_I0+2], v[vgprLocalReadAddrB] offset:4160 // L -> Reg lro=4096 swapByteOffset=0 ti=32 vIdx=2 rIdx=0 oIdx=0 buffer=0 iui=0
_ds_load_u8 v61, v[vgprLocalReadAddrB] offset:4416 // L -> Reg lro=4096 swapByteOffset=0 ti=32 vIdx=2 rIdx=1 oIdx=0 buffer=0 iui=0
/* pack scheduling: packAIdx:6, packBIdx:6 */
_v_lshl_or_b32 v[vgprValuB_X1_I0+3], v94, 0x8, v[vgprValuB_X1_I0+3] // pack two int8 Vgpr to one half Vgpr
_v_lshl_or_b32 v95, v96, 0x8, v95                  // pack two int8 Vgpr to one half Vgpr
v_or_b32 v[vgprValuB_X1_I0+3], v[vgprValuB_X1_I0+3], v95 // pack two half Vgpr to one Vgpr
_v_lshl_or_b32 v[vgprValuB_X1_I0+4], v97, 0x8, v[vgprValuB_X1_I0+4] // pack two int8 Vgpr to one half Vgpr
_v_lshl_or_b32 v98, v99, 0x8, v98                  // pack two int8 Vgpr to one half Vgpr
v_or_b32 v[vgprValuB_X1_I0+4], v[vgprValuB_X1_I0+4], v98 // pack two half Vgpr to one Vgpr
v_mfma_i32_32x32x8i8 a[48+0:63+0], v[vgprValuA_X1_I0+1+0+0], v[vgprValuB_X1_I0+1+0+0], a[48:63]
/*  mfmaIndex:19  */
_ds_load_u8_d16_hi v62, v[vgprLocalReadAddrB] offset:4672 // L -> Reg lro=4096 swapByteOffset=0 ti=32 vIdx=2 rIdx=2 oIdx=0 buffer=0 iui=0
_ds_load_u8_d16_hi v63, v[vgprLocalReadAddrB] offset:4928 // L -> Reg lro=4096 swapByteOffset=0 ti=32 vIdx=2 rIdx=3 oIdx=0 buffer=0 iui=0
_ds_load_u8 v[vgprValuB_X0_I0+3], v[vgprLocalReadAddrB] offset:4192 // L -> Reg lro=4096 swapByteOffset=0 ti=32 vIdx=3 rIdx=0 oIdx=0 buffer=0 iui=0
_ds_load_u8 v64, v[vgprLocalReadAddrB] offset:4448 // L -> Reg lro=4096 swapByteOffset=0 ti=32 vIdx=3 rIdx=1 oIdx=0 buffer=0 iui=0
_ds_load_u8_d16_hi v65, v[vgprLocalReadAddrB] offset:4704 // L -> Reg lro=4096 swapByteOffset=0 ti=32 vIdx=3 rIdx=2 oIdx=0 buffer=0 iui=0
_ds_load_u8_d16_hi v66, v[vgprLocalReadAddrB] offset:4960 // L -> Reg lro=4096 swapByteOffset=0 ti=32 vIdx=3 rIdx=3 oIdx=0 buffer=0 iui=0
/* pack scheduling: packAIdx:6, packBIdx:6 */
_v_lshl_or_b32 v[vgprValuB_X1_I0+5], v100, 0x8, v[vgprValuB_X1_I0+5] // pack two int8 Vgpr to one half Vgpr
_v_lshl_or_b32 v101, v102, 0x8, v101               // pack two int8 Vgpr to one half Vgpr
v_or_b32 v[vgprValuB_X1_I0+5], v[vgprValuB_X1_I0+5], v101 // pack two half Vgpr to one Vgpr
_v_lshl_or_b32 v[vgprValuB_X1_I0+6], v103, 0x8, v[vgprValuB_X1_I0+6] // pack two int8 Vgpr to one half Vgpr
_v_lshl_or_b32 v104, v105, 0x8, v104               // pack two int8 Vgpr to one half Vgpr
v_or_b32 v[vgprValuB_X1_I0+6], v[vgprValuB_X1_I0+6], v104 // pack two half Vgpr to one Vgpr
v_mfma_i32_32x32x8i8 a[32+0:47+0], v[vgprValuA_X1_I0+0+0+0], v[vgprValuB_X1_I0+1+0+0], a[32:47]
/*  mfmaIndex:20  */
_ds_load_u8 v[vgprValuB_X0_I0+4], v[vgprLocalReadAddrB] offset:4224 // L -> Reg lro=4096 swapByteOffset=0 ti=32 vIdx=4 rIdx=0 oIdx=0 buffer=0 iui=0
_ds_load_u8 v67, v[vgprLocalReadAddrB] offset:4480 // L -> Reg lro=4096 swapByteOffset=0 ti=32 vIdx=4 rIdx=1 oIdx=0 buffer=0 iui=0
_ds_load_u8_d16_hi v68, v[vgprLocalReadAddrB] offset:4736 // L -> Reg lro=4096 swapByteOffset=0 ti=32 vIdx=4 rIdx=2 oIdx=0 buffer=0 iui=0
_ds_load_u8_d16_hi v69, v[vgprLocalReadAddrB] offset:4992 // L -> Reg lro=4096 swapByteOffset=0 ti=32 vIdx=4 rIdx=3 oIdx=0 buffer=0 iui=0
_ds_load_u8 v[vgprValuB_X0_I0+5], v[vgprLocalReadAddrB] offset:4256 // L -> Reg lro=4096 swapByteOffset=0 ti=32 vIdx=5 rIdx=0 oIdx=0 buffer=0 iui=0
_ds_load_u8 v70, v[vgprLocalReadAddrB] offset:4512 // L -> Reg lro=4096 swapByteOffset=0 ti=32 vIdx=5 rIdx=1 oIdx=0 buffer=0 iui=0
/* pack scheduling: packAIdx:6, packBIdx:9 */
_v_lshl_or_b32 v[vgprValuB_X1_I0+7], v106, 0x8, v[vgprValuB_X1_I0+7] // pack two int8 Vgpr to one half Vgpr
_v_lshl_or_b32 v107, v108, 0x8, v107               // pack two int8 Vgpr to one half Vgpr
v_or_b32 v[vgprValuB_X1_I0+7], v[vgprValuB_X1_I0+7], v107 // pack two half Vgpr to one Vgpr
v_mfma_i32_32x32x8i8 a[64+0:79+0], v[vgprValuA_X1_I0+0+0+0], v[vgprValuB_X1_I0+2+0+0], a[64:79]
/*  mfmaIndex:21  */
_ds_load_u8_d16_hi v71, v[vgprLocalReadAddrB] offset:4768 // L -> Reg lro=4096 swapByteOffset=0 ti=32 vIdx=5 rIdx=2 oIdx=0 buffer=0 iui=0
_ds_load_u8_d16_hi v72, v[vgprLocalReadAddrB] offset:5024 // L -> Reg lro=4096 swapByteOffset=0 ti=32 vIdx=5 rIdx=3 oIdx=0 buffer=0 iui=0
_ds_load_u8 v[vgprValuB_X0_I0+6], v[vgprLocalReadAddrB] offset:4288 // L -> Reg lro=4096 swapByteOffset=0 ti=32 vIdx=6 rIdx=0 oIdx=0 buffer=0 iui=0
_ds_load_u8 v73, v[vgprLocalReadAddrB] offset:4544 // L -> Reg lro=4096 swapByteOffset=0 ti=32 vIdx=6 rIdx=1 oIdx=0 buffer=0 iui=0
_ds_load_u8_d16_hi v74, v[vgprLocalReadAddrB] offset:4800 // L -> Reg lro=4096 swapByteOffset=0 ti=32 vIdx=6 rIdx=2 oIdx=0 buffer=0 iui=0
_ds_load_u8_d16_hi v75, v[vgprLocalReadAddrB] offset:5056 // L -> Reg lro=4096 swapByteOffset=0 ti=32 vIdx=6 rIdx=3 oIdx=0 buffer=0 iui=0
v_mfma_i32_32x32x8i8 a[80+0:95+0], v[vgprValuA_X1_I0+1+0+0], v[vgprValuB_X1_I0+2+0+0], a[80:95]
/*  mfmaIndex:22  */
_ds_load_u8 v[vgprValuB_X0_I0+7], v[vgprLocalReadAddrB] offset:4320 // L -> Reg lro=4096 swapByteOffset=0 ti=32 vIdx=7 rIdx=0 oIdx=0 buffer=0 iui=0
_ds_load_u8 v76, v[vgprLocalReadAddrB] offset:4576 // L -> Reg lro=4096 swapByteOffset=0 ti=32 vIdx=7 rIdx=1 oIdx=0 buffer=0 iui=0
_ds_load_u8_d16_hi v77, v[vgprLocalReadAddrB] offset:4832 // L -> Reg lro=4096 swapByteOffset=0 ti=32 vIdx=7 rIdx=2 oIdx=0 buffer=0 iui=0
_ds_load_u8_d16_hi v78, v[vgprLocalReadAddrB] offset:5088 // L -> Reg lro=4096 swapByteOffset=0 ti=32 vIdx=7 rIdx=3 oIdx=0 buffer=0 iui=0
/* localReadsVacancy: latencyLeft 5 */
v_mfma_i32_32x32x8i8 a[112+0:127+0], v[vgprValuA_X1_I0+1+0+0], v[vgprValuB_X1_I0+3+0+0], a[112:127]
/*  mfmaIndex:23  */
/* localReadsVacancy: latencyLeft 13 */
v_mfma_i32_32x32x8i8 a[96+0:111+0], v[vgprValuA_X1_I0+0+0+0], v[vgprValuB_X1_I0+3+0+0], a[96:111]
/*  mfmaIndex:24  */
	;; [unrolled: 3-line block ×9, first 2 shown]
/* localReadsVacancy: latencyLeft 13 */
v_mfma_i32_32x32x8i8 a[224+0:239+0], v[vgprValuA_X1_I0+0+0+0], v[vgprValuB_X1_I0+7+0+0], a[224:239]
/* numPrefetchIter=0 */
/* dataAtIterA=0 numReadsIterA=2 skipReadsIterA=1 readsPerIterA=8 */
/* dataAtIterB=0 numReadsIterB=2 skipReadsIterB=1 readsPerIterB=32 */


/* iter 2 (reset local read pointers iteration)  (swap local read pointers iteration)  */

/*  grEndMfmaIndex:7, lwStartMfmaIndex:47, lwEndMfmaIndex:54  */
/*  numMfmaForLR:7, barrierMfmaIndex:56 */
/*  mfmaIndex:32  */
_ds_load_u8 v[vgprValuA_X1_I0+0], v[vgprLocalReadAddrA] offset:6144 // L -> Reg lro=6144 swapByteOffset=0 ti=128 vIdx=0 rIdx=0 oIdx=0 buffer=1 iui=0
_ds_load_u8 v79, v[vgprLocalReadAddrA] offset:6400 // L -> Reg lro=6144 swapByteOffset=0 ti=128 vIdx=0 rIdx=1 oIdx=0 buffer=1 iui=0
_ds_load_u8_d16_hi v80, v[vgprLocalReadAddrA] offset:6656 // L -> Reg lro=6144 swapByteOffset=0 ti=128 vIdx=0 rIdx=2 oIdx=0 buffer=1 iui=0
_ds_load_u8_d16_hi v81, v[vgprLocalReadAddrA] offset:6912 // L -> Reg lro=6144 swapByteOffset=0 ti=128 vIdx=0 rIdx=3 oIdx=0 buffer=1 iui=0
_ds_load_u8 v[vgprValuB_X1_I0+0], v[vgprLocalReadAddrB] offset:6144 // L -> Reg lro=6144 swapByteOffset=0 ti=32 vIdx=0 rIdx=0 oIdx=0 buffer=1 iui=0
_ds_load_u8 v85, v[vgprLocalReadAddrB] offset:6400 // L -> Reg lro=6144 swapByteOffset=0 ti=32 vIdx=0 rIdx=1 oIdx=0 buffer=1 iui=0
s_waitcnt lgkmcnt(6)                               // lgkmcnt=0 vmcnt=-1wait for prior local read local write old=0, new=6 newLW=0 newLR=6
/* pack scheduling: packAIdx:3, packBIdx:3 */
_v_lshl_or_b32 v[vgprValuA_X0_I0+0], v49, 0x8, v[vgprValuA_X0_I0+0] // pack two int8 Vgpr to one half Vgpr
_v_lshl_or_b32 v50, v51, 0x8, v50                  // pack two int8 Vgpr to one half Vgpr
v_or_b32 v[vgprValuA_X0_I0+0], v[vgprValuA_X0_I0+0], v50 // pack two half Vgpr to one Vgpr
_v_lshl_or_b32 v[vgprValuB_X0_I0+0], v55, 0x8, v[vgprValuB_X0_I0+0] // pack two int8 Vgpr to one half Vgpr
_v_lshl_or_b32 v56, v57, 0x8, v56                  // pack two int8 Vgpr to one half Vgpr
v_or_b32 v[vgprValuB_X0_I0+0], v[vgprValuB_X0_I0+0], v56 // pack two half Vgpr to one Vgpr
_v_lshl_or_b32 v[vgprValuA_X0_I0+1], v52, 0x8, v[vgprValuA_X0_I0+1] // pack two int8 Vgpr to one half Vgpr
_v_lshl_or_b32 v53, v54, 0x8, v53                  // pack two int8 Vgpr to one half Vgpr
v_or_b32 v[vgprValuA_X0_I0+1], v[vgprValuA_X0_I0+1], v53 // pack two half Vgpr to one Vgpr
v_mfma_i32_32x32x8i8 a[0+0:15+0], v[vgprValuA_X0_I0+0+0+0], v[vgprValuB_X0_I0+0+0+0], a[0:15]
/*  mfmaIndex:33  */
_ds_load_u8_d16_hi v86, v[vgprLocalReadAddrB] offset:6656 // L -> Reg lro=6144 swapByteOffset=0 ti=32 vIdx=0 rIdx=2 oIdx=0 buffer=1 iui=0
_ds_load_u8_d16_hi v87, v[vgprLocalReadAddrB] offset:6912 // L -> Reg lro=6144 swapByteOffset=0 ti=32 vIdx=0 rIdx=3 oIdx=0 buffer=1 iui=0
_ds_load_u8 v[vgprValuA_X1_I0+1], v[vgprLocalReadAddrA] offset:6272 // L -> Reg lro=6144 swapByteOffset=0 ti=128 vIdx=1 rIdx=0 oIdx=0 buffer=1 iui=0
_ds_load_u8 v82, v[vgprLocalReadAddrA] offset:6528 // L -> Reg lro=6144 swapByteOffset=0 ti=128 vIdx=1 rIdx=1 oIdx=0 buffer=1 iui=0
_ds_load_u8_d16_hi v83, v[vgprLocalReadAddrA] offset:6784 // L -> Reg lro=6144 swapByteOffset=0 ti=128 vIdx=1 rIdx=2 oIdx=0 buffer=1 iui=0
_ds_load_u8_d16_hi v84, v[vgprLocalReadAddrA] offset:7040 // L -> Reg lro=6144 swapByteOffset=0 ti=128 vIdx=1 rIdx=3 oIdx=0 buffer=1 iui=0
/* pack scheduling: packAIdx:6, packBIdx:3 */
_v_lshl_or_b32 v[vgprValuB_X0_I0+1], v58, 0x8, v[vgprValuB_X0_I0+1] // pack two int8 Vgpr to one half Vgpr
_v_lshl_or_b32 v59, v60, 0x8, v59                  // pack two int8 Vgpr to one half Vgpr
v_or_b32 v[vgprValuB_X0_I0+1], v[vgprValuB_X0_I0+1], v59 // pack two half Vgpr to one Vgpr
_v_lshl_or_b32 v[vgprValuB_X0_I0+2], v61, 0x8, v[vgprValuB_X0_I0+2] // pack two int8 Vgpr to one half Vgpr
_v_lshl_or_b32 v62, v63, 0x8, v62                  // pack two int8 Vgpr to one half Vgpr
v_or_b32 v[vgprValuB_X0_I0+2], v[vgprValuB_X0_I0+2], v62 // pack two half Vgpr to one Vgpr
v_mfma_i32_32x32x8i8 a[16+0:31+0], v[vgprValuA_X0_I0+1+0+0], v[vgprValuB_X0_I0+0+0+0], a[16:31]
/*  mfmaIndex:34  */
_ds_load_u8 v[vgprValuB_X1_I0+1], v[vgprLocalReadAddrB] offset:6176 // L -> Reg lro=6144 swapByteOffset=0 ti=32 vIdx=1 rIdx=0 oIdx=0 buffer=1 iui=0
_ds_load_u8 v88, v[vgprLocalReadAddrB] offset:6432 // L -> Reg lro=6144 swapByteOffset=0 ti=32 vIdx=1 rIdx=1 oIdx=0 buffer=1 iui=0
_ds_load_u8_d16_hi v89, v[vgprLocalReadAddrB] offset:6688 // L -> Reg lro=6144 swapByteOffset=0 ti=32 vIdx=1 rIdx=2 oIdx=0 buffer=1 iui=0
_ds_load_u8_d16_hi v90, v[vgprLocalReadAddrB] offset:6944 // L -> Reg lro=6144 swapByteOffset=0 ti=32 vIdx=1 rIdx=3 oIdx=0 buffer=1 iui=0
_ds_load_u8 v[vgprValuB_X1_I0+2], v[vgprLocalReadAddrB] offset:6208 // L -> Reg lro=6144 swapByteOffset=0 ti=32 vIdx=2 rIdx=0 oIdx=0 buffer=1 iui=0
_ds_load_u8 v91, v[vgprLocalReadAddrB] offset:6464 // L -> Reg lro=6144 swapByteOffset=0 ti=32 vIdx=2 rIdx=1 oIdx=0 buffer=1 iui=0
/* pack scheduling: packAIdx:6, packBIdx:6 */
_v_lshl_or_b32 v[vgprValuB_X0_I0+3], v64, 0x8, v[vgprValuB_X0_I0+3] // pack two int8 Vgpr to one half Vgpr
_v_lshl_or_b32 v65, v66, 0x8, v65                  // pack two int8 Vgpr to one half Vgpr
v_or_b32 v[vgprValuB_X0_I0+3], v[vgprValuB_X0_I0+3], v65 // pack two half Vgpr to one Vgpr
_v_lshl_or_b32 v[vgprValuB_X0_I0+4], v67, 0x8, v[vgprValuB_X0_I0+4] // pack two int8 Vgpr to one half Vgpr
_v_lshl_or_b32 v68, v69, 0x8, v68                  // pack two int8 Vgpr to one half Vgpr
v_or_b32 v[vgprValuB_X0_I0+4], v[vgprValuB_X0_I0+4], v68 // pack two half Vgpr to one Vgpr
v_mfma_i32_32x32x8i8 a[48+0:63+0], v[vgprValuA_X0_I0+1+0+0], v[vgprValuB_X0_I0+1+0+0], a[48:63]
/*  mfmaIndex:35  */
_ds_load_u8_d16_hi v92, v[vgprLocalReadAddrB] offset:6720 // L -> Reg lro=6144 swapByteOffset=0 ti=32 vIdx=2 rIdx=2 oIdx=0 buffer=1 iui=0
_ds_load_u8_d16_hi v93, v[vgprLocalReadAddrB] offset:6976 // L -> Reg lro=6144 swapByteOffset=0 ti=32 vIdx=2 rIdx=3 oIdx=0 buffer=1 iui=0
_ds_load_u8 v[vgprValuB_X1_I0+3], v[vgprLocalReadAddrB] offset:6240 // L -> Reg lro=6144 swapByteOffset=0 ti=32 vIdx=3 rIdx=0 oIdx=0 buffer=1 iui=0
_ds_load_u8 v94, v[vgprLocalReadAddrB] offset:6496 // L -> Reg lro=6144 swapByteOffset=0 ti=32 vIdx=3 rIdx=1 oIdx=0 buffer=1 iui=0
_ds_load_u8_d16_hi v95, v[vgprLocalReadAddrB] offset:6752 // L -> Reg lro=6144 swapByteOffset=0 ti=32 vIdx=3 rIdx=2 oIdx=0 buffer=1 iui=0
_ds_load_u8_d16_hi v96, v[vgprLocalReadAddrB] offset:7008 // L -> Reg lro=6144 swapByteOffset=0 ti=32 vIdx=3 rIdx=3 oIdx=0 buffer=1 iui=0
/* pack scheduling: packAIdx:6, packBIdx:6 */
_v_lshl_or_b32 v[vgprValuB_X0_I0+5], v70, 0x8, v[vgprValuB_X0_I0+5] // pack two int8 Vgpr to one half Vgpr
_v_lshl_or_b32 v71, v72, 0x8, v71                  // pack two int8 Vgpr to one half Vgpr
v_or_b32 v[vgprValuB_X0_I0+5], v[vgprValuB_X0_I0+5], v71 // pack two half Vgpr to one Vgpr
_v_lshl_or_b32 v[vgprValuB_X0_I0+6], v73, 0x8, v[vgprValuB_X0_I0+6] // pack two int8 Vgpr to one half Vgpr
_v_lshl_or_b32 v74, v75, 0x8, v74                  // pack two int8 Vgpr to one half Vgpr
v_or_b32 v[vgprValuB_X0_I0+6], v[vgprValuB_X0_I0+6], v74 // pack two half Vgpr to one Vgpr
v_mfma_i32_32x32x8i8 a[32+0:47+0], v[vgprValuA_X0_I0+0+0+0], v[vgprValuB_X0_I0+1+0+0], a[32:47]
/*  mfmaIndex:36  */
_ds_load_u8 v[vgprValuB_X1_I0+4], v[vgprLocalReadAddrB] offset:6272 // L -> Reg lro=6144 swapByteOffset=0 ti=32 vIdx=4 rIdx=0 oIdx=0 buffer=1 iui=0
_ds_load_u8 v97, v[vgprLocalReadAddrB] offset:6528 // L -> Reg lro=6144 swapByteOffset=0 ti=32 vIdx=4 rIdx=1 oIdx=0 buffer=1 iui=0
_ds_load_u8_d16_hi v98, v[vgprLocalReadAddrB] offset:6784 // L -> Reg lro=6144 swapByteOffset=0 ti=32 vIdx=4 rIdx=2 oIdx=0 buffer=1 iui=0
_ds_load_u8_d16_hi v99, v[vgprLocalReadAddrB] offset:7040 // L -> Reg lro=6144 swapByteOffset=0 ti=32 vIdx=4 rIdx=3 oIdx=0 buffer=1 iui=0
_ds_load_u8 v[vgprValuB_X1_I0+5], v[vgprLocalReadAddrB] offset:6304 // L -> Reg lro=6144 swapByteOffset=0 ti=32 vIdx=5 rIdx=0 oIdx=0 buffer=1 iui=0
_ds_load_u8 v100, v[vgprLocalReadAddrB] offset:6560 // L -> Reg lro=6144 swapByteOffset=0 ti=32 vIdx=5 rIdx=1 oIdx=0 buffer=1 iui=0
/* pack scheduling: packAIdx:6, packBIdx:9 */
_v_lshl_or_b32 v[vgprValuB_X0_I0+7], v76, 0x8, v[vgprValuB_X0_I0+7] // pack two int8 Vgpr to one half Vgpr
_v_lshl_or_b32 v77, v78, 0x8, v77                  // pack two int8 Vgpr to one half Vgpr
v_or_b32 v[vgprValuB_X0_I0+7], v[vgprValuB_X0_I0+7], v77 // pack two half Vgpr to one Vgpr
v_mfma_i32_32x32x8i8 a[64+0:79+0], v[vgprValuA_X0_I0+0+0+0], v[vgprValuB_X0_I0+2+0+0], a[64:79]
/*  mfmaIndex:37  */
_ds_load_u8_d16_hi v101, v[vgprLocalReadAddrB] offset:6816 // L -> Reg lro=6144 swapByteOffset=0 ti=32 vIdx=5 rIdx=2 oIdx=0 buffer=1 iui=0
_ds_load_u8_d16_hi v102, v[vgprLocalReadAddrB] offset:7072 // L -> Reg lro=6144 swapByteOffset=0 ti=32 vIdx=5 rIdx=3 oIdx=0 buffer=1 iui=0
_ds_load_u8 v[vgprValuB_X1_I0+6], v[vgprLocalReadAddrB] offset:6336 // L -> Reg lro=6144 swapByteOffset=0 ti=32 vIdx=6 rIdx=0 oIdx=0 buffer=1 iui=0
_ds_load_u8 v103, v[vgprLocalReadAddrB] offset:6592 // L -> Reg lro=6144 swapByteOffset=0 ti=32 vIdx=6 rIdx=1 oIdx=0 buffer=1 iui=0
_ds_load_u8_d16_hi v104, v[vgprLocalReadAddrB] offset:6848 // L -> Reg lro=6144 swapByteOffset=0 ti=32 vIdx=6 rIdx=2 oIdx=0 buffer=1 iui=0
_ds_load_u8_d16_hi v105, v[vgprLocalReadAddrB] offset:7104 // L -> Reg lro=6144 swapByteOffset=0 ti=32 vIdx=6 rIdx=3 oIdx=0 buffer=1 iui=0
v_mfma_i32_32x32x8i8 a[80+0:95+0], v[vgprValuA_X0_I0+1+0+0], v[vgprValuB_X0_I0+2+0+0], a[80:95]
/*  mfmaIndex:38  */
_ds_load_u8 v[vgprValuB_X1_I0+7], v[vgprLocalReadAddrB] offset:6368 // L -> Reg lro=6144 swapByteOffset=0 ti=32 vIdx=7 rIdx=0 oIdx=0 buffer=1 iui=0
_ds_load_u8 v106, v[vgprLocalReadAddrB] offset:6624 // L -> Reg lro=6144 swapByteOffset=0 ti=32 vIdx=7 rIdx=1 oIdx=0 buffer=1 iui=0
_ds_load_u8_d16_hi v107, v[vgprLocalReadAddrB] offset:6880 // L -> Reg lro=6144 swapByteOffset=0 ti=32 vIdx=7 rIdx=2 oIdx=0 buffer=1 iui=0
_ds_load_u8_d16_hi v108, v[vgprLocalReadAddrB] offset:7136 // L -> Reg lro=6144 swapByteOffset=0 ti=32 vIdx=7 rIdx=3 oIdx=0 buffer=1 iui=0
/* localReadsVacancy: latencyLeft 5 */
v_mfma_i32_32x32x8i8 a[112+0:127+0], v[vgprValuA_X0_I0+1+0+0], v[vgprValuB_X0_I0+3+0+0], a[112:127]
/*  mfmaIndex:39  */
/* localReadsVacancy: latencyLeft 13 */
v_mfma_i32_32x32x8i8 a[96+0:111+0], v[vgprValuA_X0_I0+0+0+0], v[vgprValuB_X0_I0+3+0+0], a[96:111]
/*  mfmaIndex:40  */
	;; [unrolled: 3-line block ×9, first 2 shown]
/* localReadsVacancy: latencyLeft 7 */
/* sched write - iter 2 writesPerItem=1 */
s_waitcnt vmcnt(0)                                 // lgkmcnt=-1 vmcnt=0wait for global read before writing to local
_ds_store_b64 v[vgprLocalWriteAddrA], v[vgprG2LA+0:vgprG2LA+0+1] offset:16384 // lwoA_0_0_0_0 = (0*LSCA) + (0*LSPA)(*MT0I+PAD) = 16384

/* local read swap offsets a */

/* local read swap internal offset -> 16384 */

/* local read swap offsets b */

/* local read swap internal offset -> 16384 */

/* local read init pointers a */

/* localReadInitPointers */

/* local read init pointers b */

/* localReadInitPointers */
v_mfma_i32_32x32x8i8 a[224+0:239+0], v[vgprValuA_X0_I0+0+0+0], v[vgprValuB_X0_I0+7+0+0], a[224:239]
/* numPrefetchIter=0 */
/* dataAtIterA=1 numReadsIterA=3 skipReadsIterA=1 readsPerIterA=8 */
/* dataAtIterB=1 numReadsIterB=3 skipReadsIterB=1 readsPerIterB=32 */


/* iter 3 (swap and reset local write pointers iteration)  */

/*  grEndMfmaIndex:7, lwStartMfmaIndex:47, lwEndMfmaIndex:54  */
/*  numMfmaForLR:7, barrierMfmaIndex:56 */
/*  mfmaIndex:48  */
/* sched write - iter 3 writesPerItem=1 */
s_waitcnt vmcnt(0)                                 // lgkmcnt=-1 vmcnt=0wait for global read before writing to local
_ds_store_b64 v[vgprLocalWriteAddrA], v[vgprG2LA+2:vgprG2LA+2+1] offset:16896 // lwoA_0_0_1_0 = (0*LSCA) + (1*LSPA)(*MT0I+PAD) = 16896
s_waitcnt lgkmcnt(2)                               // lgkmcnt=0 vmcnt=-1wait for prior local read local write old=0, new=2 newLW=2 newLR=0
/* pack scheduling: packAIdx:3, packBIdx:3 */
_v_lshl_or_b32 v[vgprValuA_X1_I0+0], v79, 0x8, v[vgprValuA_X1_I0+0] // pack two int8 Vgpr to one half Vgpr
_v_lshl_or_b32 v80, v81, 0x8, v80                  // pack two int8 Vgpr to one half Vgpr
v_or_b32 v[vgprValuA_X1_I0+0], v[vgprValuA_X1_I0+0], v80 // pack two half Vgpr to one Vgpr
_v_lshl_or_b32 v[vgprValuB_X1_I0+0], v85, 0x8, v[vgprValuB_X1_I0+0] // pack two int8 Vgpr to one half Vgpr
_v_lshl_or_b32 v86, v87, 0x8, v86                  // pack two int8 Vgpr to one half Vgpr
v_or_b32 v[vgprValuB_X1_I0+0], v[vgprValuB_X1_I0+0], v86 // pack two half Vgpr to one Vgpr
_v_lshl_or_b32 v[vgprValuA_X1_I0+1], v82, 0x8, v[vgprValuA_X1_I0+1] // pack two int8 Vgpr to one half Vgpr
_v_lshl_or_b32 v83, v84, 0x8, v83                  // pack two int8 Vgpr to one half Vgpr
v_or_b32 v[vgprValuA_X1_I0+1], v[vgprValuA_X1_I0+1], v83 // pack two half Vgpr to one Vgpr
v_mfma_i32_32x32x8i8 a[0+0:15+0], v[vgprValuA_X1_I0+0+0+0], v[vgprValuB_X1_I0+0+0+0], a[0:15]
/*  mfmaIndex:49  */
/* sched write - iter 3 writesPerItem=1 */
s_waitcnt vmcnt(0)                                 // lgkmcnt=-1 vmcnt=0wait for global read before writing to local
_ds_store_b64 v[vgprLocalWriteAddrA], v[vgprG2LA+4:vgprG2LA+4+1] offset:17408 // lwoA_0_0_2_0 = (0*LSCA) + (2*LSPA)(*MT0I+PAD) = 17408
/* pack scheduling: packAIdx:6, packBIdx:3 */
_v_lshl_or_b32 v[vgprValuB_X1_I0+1], v88, 0x8, v[vgprValuB_X1_I0+1] // pack two int8 Vgpr to one half Vgpr
_v_lshl_or_b32 v89, v90, 0x8, v89                  // pack two int8 Vgpr to one half Vgpr
v_or_b32 v[vgprValuB_X1_I0+1], v[vgprValuB_X1_I0+1], v89 // pack two half Vgpr to one Vgpr
_v_lshl_or_b32 v[vgprValuB_X1_I0+2], v91, 0x8, v[vgprValuB_X1_I0+2] // pack two int8 Vgpr to one half Vgpr
_v_lshl_or_b32 v92, v93, 0x8, v92                  // pack two int8 Vgpr to one half Vgpr
v_or_b32 v[vgprValuB_X1_I0+2], v[vgprValuB_X1_I0+2], v92 // pack two half Vgpr to one Vgpr
v_mfma_i32_32x32x8i8 a[16+0:31+0], v[vgprValuA_X1_I0+1+0+0], v[vgprValuB_X1_I0+0+0+0], a[16:31]
/*  mfmaIndex:50  */
/* sched write - iter 3 writesPerItem=1 */
s_waitcnt vmcnt(0)                                 // lgkmcnt=-1 vmcnt=0wait for global read before writing to local
_ds_store_b64 v[vgprLocalWriteAddrA], v[vgprG2LA+6:vgprG2LA+6+1] offset:17920 // lwoA_0_0_3_0 = (0*LSCA) + (3*LSPA)(*MT0I+PAD) = 17920
/* pack scheduling: packAIdx:6, packBIdx:6 */
_v_lshl_or_b32 v[vgprValuB_X1_I0+3], v94, 0x8, v[vgprValuB_X1_I0+3] // pack two int8 Vgpr to one half Vgpr
_v_lshl_or_b32 v95, v96, 0x8, v95                  // pack two int8 Vgpr to one half Vgpr
v_or_b32 v[vgprValuB_X1_I0+3], v[vgprValuB_X1_I0+3], v95 // pack two half Vgpr to one Vgpr
_v_lshl_or_b32 v[vgprValuB_X1_I0+4], v97, 0x8, v[vgprValuB_X1_I0+4] // pack two int8 Vgpr to one half Vgpr
_v_lshl_or_b32 v98, v99, 0x8, v98                  // pack two int8 Vgpr to one half Vgpr
v_or_b32 v[vgprValuB_X1_I0+4], v[vgprValuB_X1_I0+4], v98 // pack two half Vgpr to one Vgpr
v_mfma_i32_32x32x8i8 a[48+0:63+0], v[vgprValuA_X1_I0+1+0+0], v[vgprValuB_X1_I0+1+0+0], a[48:63]
/*  mfmaIndex:51  */
/* sched write - iter 3 writesPerItem=1 */
s_waitcnt vmcnt(0)                                 // lgkmcnt=-1 vmcnt=0wait for global read before writing to local
_ds_store_b64 v[vgprLocalWriteAddrB], v[vgprG2LB+0:vgprG2LB+0+1] offset:16384 // lwoB_0_0_0_0 = (0*LSCB) + (0*LSPB)(*MT1J+PAD) = 16384
/* pack scheduling: packAIdx:6, packBIdx:6 */
_v_lshl_or_b32 v[vgprValuB_X1_I0+5], v100, 0x8, v[vgprValuB_X1_I0+5] // pack two int8 Vgpr to one half Vgpr
_v_lshl_or_b32 v101, v102, 0x8, v101               // pack two int8 Vgpr to one half Vgpr
v_or_b32 v[vgprValuB_X1_I0+5], v[vgprValuB_X1_I0+5], v101 // pack two half Vgpr to one Vgpr
_v_lshl_or_b32 v[vgprValuB_X1_I0+6], v103, 0x8, v[vgprValuB_X1_I0+6] // pack two int8 Vgpr to one half Vgpr
_v_lshl_or_b32 v104, v105, 0x8, v104               // pack two int8 Vgpr to one half Vgpr
v_or_b32 v[vgprValuB_X1_I0+6], v[vgprValuB_X1_I0+6], v104 // pack two half Vgpr to one Vgpr
v_mfma_i32_32x32x8i8 a[32+0:47+0], v[vgprValuA_X1_I0+0+0+0], v[vgprValuB_X1_I0+1+0+0], a[32:47]
/*  mfmaIndex:52  */
/* sched write - iter 3 writesPerItem=1 */
s_waitcnt vmcnt(0)                                 // lgkmcnt=-1 vmcnt=0wait for global read before writing to local
_ds_store_b64 v[vgprLocalWriteAddrB], v[vgprG2LB+2:vgprG2LB+2+1] offset:16896 // lwoB_0_0_1_0 = (0*LSCB) + (1*LSPB)(*MT1J+PAD) = 16896
/* pack scheduling: packAIdx:6, packBIdx:9 */
_v_lshl_or_b32 v[vgprValuB_X1_I0+7], v106, 0x8, v[vgprValuB_X1_I0+7] // pack two int8 Vgpr to one half Vgpr
_v_lshl_or_b32 v107, v108, 0x8, v107               // pack two int8 Vgpr to one half Vgpr
v_or_b32 v[vgprValuB_X1_I0+7], v[vgprValuB_X1_I0+7], v107 // pack two half Vgpr to one Vgpr
v_mfma_i32_32x32x8i8 a[64+0:79+0], v[vgprValuA_X1_I0+0+0+0], v[vgprValuB_X1_I0+2+0+0], a[64:79]
/*  mfmaIndex:53  */
/* sched write - iter 3 writesPerItem=1 */
s_waitcnt vmcnt(0)                                 // lgkmcnt=-1 vmcnt=0wait for global read before writing to local
_ds_store_b64 v[vgprLocalWriteAddrB], v[vgprG2LB+4:vgprG2LB+4+1] offset:17408 // lwoB_0_0_2_0 = (0*LSCB) + (2*LSPB)(*MT1J+PAD) = 17408
v_mfma_i32_32x32x8i8 a[80+0:95+0], v[vgprValuA_X1_I0+1+0+0], v[vgprValuB_X1_I0+2+0+0], a[80:95]
/*  mfmaIndex:54  */
/* sched write - iter 3 writesPerItem=1 */
s_waitcnt vmcnt(0)                                 // lgkmcnt=-1 vmcnt=0wait for global read before writing to local
_ds_store_b64 v[vgprLocalWriteAddrB], v[vgprG2LB+6:vgprG2LB+6+1] offset:17920 // lwoB_0_0_3_0 = (0*LSCB) + (3*LSPB)(*MT1J+PAD) = 17920

/* local write swap offsets a */

/* (EPS=1) local write swap internal offset -> 0 */

/* local write swap offsets b */

/* (EPS=1) local write swap internal offset -> 0 */
v_mfma_i32_32x32x8i8 a[112+0:127+0], v[vgprValuA_X1_I0+1+0+0], v[vgprValuB_X1_I0+3+0+0], a[112:127]
/*  mfmaIndex:55  */
v_mfma_i32_32x32x8i8 a[96+0:111+0], v[vgprValuA_X1_I0+0+0+0], v[vgprValuB_X1_I0+3+0+0], a[96:111]
/*  mfmaIndex:56  */
s_waitcnt lgkmcnt(0)                               // lgkmcnt=0 vmcnt=-13wait for local write
s_waitcnt lgkmcnt(0) & vmcnt(0)                    // force waitcnt0
s_barrier //
v_mfma_i32_32x32x8i8 a[128+0:143+0], v[vgprValuA_X1_I0+0+0+0], v[vgprValuB_X1_I0+4+0+0], a[128:143]
/*  mfmaIndex:57  */
_ds_load_u8 v[vgprValuA_X0_I0+0], v[vgprLocalReadAddrA] offset:16384 // L -> Reg lro=0 swapByteOffset=16384 ti=128 vIdx=0 rIdx=0 oIdx=0 buffer=0 iui=0
_ds_load_u8 v49, v[vgprLocalReadAddrA] offset:16640 // L -> Reg lro=0 swapByteOffset=16384 ti=128 vIdx=0 rIdx=1 oIdx=0 buffer=0 iui=0
_ds_load_u8_d16_hi v50, v[vgprLocalReadAddrA] offset:16896 // L -> Reg lro=0 swapByteOffset=16384 ti=128 vIdx=0 rIdx=2 oIdx=0 buffer=0 iui=0
_ds_load_u8_d16_hi v51, v[vgprLocalReadAddrA] offset:17152 // L -> Reg lro=0 swapByteOffset=16384 ti=128 vIdx=0 rIdx=3 oIdx=0 buffer=0 iui=0
_ds_load_u8 v[vgprValuB_X0_I0+0], v[vgprLocalReadAddrB] offset:16384 // L -> Reg lro=0 swapByteOffset=16384 ti=32 vIdx=0 rIdx=0 oIdx=0 buffer=0 iui=0
_ds_load_u8 v55, v[vgprLocalReadAddrB] offset:16640 // L -> Reg lro=0 swapByteOffset=16384 ti=32 vIdx=0 rIdx=1 oIdx=0 buffer=0 iui=0
v_mfma_i32_32x32x8i8 a[144+0:159+0], v[vgprValuA_X1_I0+1+0+0], v[vgprValuB_X1_I0+4+0+0], a[144:159]
/*  mfmaIndex:58  */
_ds_load_u8_d16_hi v56, v[vgprLocalReadAddrB] offset:16896 // L -> Reg lro=0 swapByteOffset=16384 ti=32 vIdx=0 rIdx=2 oIdx=0 buffer=0 iui=0
_ds_load_u8_d16_hi v57, v[vgprLocalReadAddrB] offset:17152 // L -> Reg lro=0 swapByteOffset=16384 ti=32 vIdx=0 rIdx=3 oIdx=0 buffer=0 iui=0
_ds_load_u8 v[vgprValuA_X0_I0+1], v[vgprLocalReadAddrA] offset:16512 // L -> Reg lro=0 swapByteOffset=16384 ti=128 vIdx=1 rIdx=0 oIdx=0 buffer=0 iui=0
_ds_load_u8 v52, v[vgprLocalReadAddrA] offset:16768 // L -> Reg lro=0 swapByteOffset=16384 ti=128 vIdx=1 rIdx=1 oIdx=0 buffer=0 iui=0
_ds_load_u8_d16_hi v53, v[vgprLocalReadAddrA] offset:17024 // L -> Reg lro=0 swapByteOffset=16384 ti=128 vIdx=1 rIdx=2 oIdx=0 buffer=0 iui=0
_ds_load_u8_d16_hi v54, v[vgprLocalReadAddrA] offset:17280 // L -> Reg lro=0 swapByteOffset=16384 ti=128 vIdx=1 rIdx=3 oIdx=0 buffer=0 iui=0
v_mfma_i32_32x32x8i8 a[176+0:191+0], v[vgprValuA_X1_I0+1+0+0], v[vgprValuB_X1_I0+5+0+0], a[176:191]
/*  mfmaIndex:59  */
_ds_load_u8 v[vgprValuB_X0_I0+1], v[vgprLocalReadAddrB] offset:16416 // L -> Reg lro=0 swapByteOffset=16384 ti=32 vIdx=1 rIdx=0 oIdx=0 buffer=0 iui=0
_ds_load_u8 v58, v[vgprLocalReadAddrB] offset:16672 // L -> Reg lro=0 swapByteOffset=16384 ti=32 vIdx=1 rIdx=1 oIdx=0 buffer=0 iui=0
_ds_load_u8_d16_hi v59, v[vgprLocalReadAddrB] offset:16928 // L -> Reg lro=0 swapByteOffset=16384 ti=32 vIdx=1 rIdx=2 oIdx=0 buffer=0 iui=0
_ds_load_u8_d16_hi v60, v[vgprLocalReadAddrB] offset:17184 // L -> Reg lro=0 swapByteOffset=16384 ti=32 vIdx=1 rIdx=3 oIdx=0 buffer=0 iui=0
_ds_load_u8 v[vgprValuB_X0_I0+2], v[vgprLocalReadAddrB] offset:16448 // L -> Reg lro=0 swapByteOffset=16384 ti=32 vIdx=2 rIdx=0 oIdx=0 buffer=0 iui=0
_ds_load_u8 v61, v[vgprLocalReadAddrB] offset:16704 // L -> Reg lro=0 swapByteOffset=16384 ti=32 vIdx=2 rIdx=1 oIdx=0 buffer=0 iui=0
v_mfma_i32_32x32x8i8 a[160+0:175+0], v[vgprValuA_X1_I0+0+0+0], v[vgprValuB_X1_I0+5+0+0], a[160:175]
/*  mfmaIndex:60  */
_ds_load_u8_d16_hi v62, v[vgprLocalReadAddrB] offset:16960 // L -> Reg lro=0 swapByteOffset=16384 ti=32 vIdx=2 rIdx=2 oIdx=0 buffer=0 iui=0
_ds_load_u8_d16_hi v63, v[vgprLocalReadAddrB] offset:17216 // L -> Reg lro=0 swapByteOffset=16384 ti=32 vIdx=2 rIdx=3 oIdx=0 buffer=0 iui=0
_ds_load_u8 v[vgprValuB_X0_I0+3], v[vgprLocalReadAddrB] offset:16480 // L -> Reg lro=0 swapByteOffset=16384 ti=32 vIdx=3 rIdx=0 oIdx=0 buffer=0 iui=0
_ds_load_u8 v64, v[vgprLocalReadAddrB] offset:16736 // L -> Reg lro=0 swapByteOffset=16384 ti=32 vIdx=3 rIdx=1 oIdx=0 buffer=0 iui=0
_ds_load_u8_d16_hi v65, v[vgprLocalReadAddrB] offset:16992 // L -> Reg lro=0 swapByteOffset=16384 ti=32 vIdx=3 rIdx=2 oIdx=0 buffer=0 iui=0
_ds_load_u8_d16_hi v66, v[vgprLocalReadAddrB] offset:17248 // L -> Reg lro=0 swapByteOffset=16384 ti=32 vIdx=3 rIdx=3 oIdx=0 buffer=0 iui=0
v_mfma_i32_32x32x8i8 a[192+0:207+0], v[vgprValuA_X1_I0+0+0+0], v[vgprValuB_X1_I0+6+0+0], a[192:207]
/*  mfmaIndex:61  */
_ds_load_u8 v[vgprValuB_X0_I0+4], v[vgprLocalReadAddrB] offset:16512 // L -> Reg lro=0 swapByteOffset=16384 ti=32 vIdx=4 rIdx=0 oIdx=0 buffer=0 iui=0
_ds_load_u8 v67, v[vgprLocalReadAddrB] offset:16768 // L -> Reg lro=0 swapByteOffset=16384 ti=32 vIdx=4 rIdx=1 oIdx=0 buffer=0 iui=0
_ds_load_u8_d16_hi v68, v[vgprLocalReadAddrB] offset:17024 // L -> Reg lro=0 swapByteOffset=16384 ti=32 vIdx=4 rIdx=2 oIdx=0 buffer=0 iui=0
_ds_load_u8_d16_hi v69, v[vgprLocalReadAddrB] offset:17280 // L -> Reg lro=0 swapByteOffset=16384 ti=32 vIdx=4 rIdx=3 oIdx=0 buffer=0 iui=0
_ds_load_u8 v[vgprValuB_X0_I0+5], v[vgprLocalReadAddrB] offset:16544 // L -> Reg lro=0 swapByteOffset=16384 ti=32 vIdx=5 rIdx=0 oIdx=0 buffer=0 iui=0
_ds_load_u8 v70, v[vgprLocalReadAddrB] offset:16800 // L -> Reg lro=0 swapByteOffset=16384 ti=32 vIdx=5 rIdx=1 oIdx=0 buffer=0 iui=0
v_mfma_i32_32x32x8i8 a[208+0:223+0], v[vgprValuA_X1_I0+1+0+0], v[vgprValuB_X1_I0+6+0+0], a[208:223]
/*  mfmaIndex:62  */
_ds_load_u8_d16_hi v71, v[vgprLocalReadAddrB] offset:17056 // L -> Reg lro=0 swapByteOffset=16384 ti=32 vIdx=5 rIdx=2 oIdx=0 buffer=0 iui=0
_ds_load_u8_d16_hi v72, v[vgprLocalReadAddrB] offset:17312 // L -> Reg lro=0 swapByteOffset=16384 ti=32 vIdx=5 rIdx=3 oIdx=0 buffer=0 iui=0
_ds_load_u8 v[vgprValuB_X0_I0+6], v[vgprLocalReadAddrB] offset:16576 // L -> Reg lro=0 swapByteOffset=16384 ti=32 vIdx=6 rIdx=0 oIdx=0 buffer=0 iui=0
_ds_load_u8 v73, v[vgprLocalReadAddrB] offset:16832 // L -> Reg lro=0 swapByteOffset=16384 ti=32 vIdx=6 rIdx=1 oIdx=0 buffer=0 iui=0
_ds_load_u8_d16_hi v74, v[vgprLocalReadAddrB] offset:17088 // L -> Reg lro=0 swapByteOffset=16384 ti=32 vIdx=6 rIdx=2 oIdx=0 buffer=0 iui=0
_ds_load_u8_d16_hi v75, v[vgprLocalReadAddrB] offset:17344 // L -> Reg lro=0 swapByteOffset=16384 ti=32 vIdx=6 rIdx=3 oIdx=0 buffer=0 iui=0
v_mfma_i32_32x32x8i8 a[240+0:255+0], v[vgprValuA_X1_I0+1+0+0], v[vgprValuB_X1_I0+7+0+0], a[240:255]
/*  mfmaIndex:63  */
_ds_load_u8 v[vgprValuB_X0_I0+7], v[vgprLocalReadAddrB] offset:16608 // L -> Reg lro=0 swapByteOffset=16384 ti=32 vIdx=7 rIdx=0 oIdx=0 buffer=0 iui=0
_ds_load_u8 v76, v[vgprLocalReadAddrB] offset:16864 // L -> Reg lro=0 swapByteOffset=16384 ti=32 vIdx=7 rIdx=1 oIdx=0 buffer=0 iui=0
_ds_load_u8_d16_hi v77, v[vgprLocalReadAddrB] offset:17120 // L -> Reg lro=0 swapByteOffset=16384 ti=32 vIdx=7 rIdx=2 oIdx=0 buffer=0 iui=0
_ds_load_u8_d16_hi v78, v[vgprLocalReadAddrB] offset:17376 // L -> Reg lro=0 swapByteOffset=16384 ti=32 vIdx=7 rIdx=3 oIdx=0 buffer=0 iui=0
v_mfma_i32_32x32x8i8 a[224+0:239+0], v[vgprValuA_X1_I0+0+0+0], v[vgprValuB_X1_I0+7+0+0], a[224:239]
/* numPrefetchIter=1 */
/* dataAtIterA=2 numReadsIterA=3 skipReadsIterA=1 readsPerIterA=8 */
/* dataAtIterB=2 numReadsIterB=3 skipReadsIterB=1 readsPerIterB=32 */


/******************************************/
/* Unrolled Loop - End 1/2                */
/******************************************/


/* closeLoop loopL finalLoop=0 tailLoop=0 */
s_sub_u32 s[sgprLoopCounterL], s[sgprLoopCounterL], 1 // dec counterL
s_cmp_eq_i32 s[sgprLoopCounterL], 0x1              // counterL==1
s_cbranch_scc1 LoopEndL_oddexit_3                  // exit LoopL


/******************************************/
/* Unrolled Loop 2/2 - Begin              */
/******************************************/

label_0014: // LoopCopy2 


/* Begin Each Unroll: Check VGPR.checkin for INT8 LW */


	;; [unrolled: 1-line block ×3, first 2 shown]
/* iter 0 */

/*  grEndMfmaIndex:7, lwStartMfmaIndex:47, lwEndMfmaIndex:54  */
/*  numMfmaForLR:7, barrierMfmaIndex:56 */
/*  mfmaIndex:0  */
_buffer_load_b64 v[vgprG2LA+0:vgprG2LA+0+1], v[vgprGlobalReadOffsetA+0], s[sgprSrdA:sgprSrdA+3], 0, offen offset:0 // G -> Reg 0_0_0_0
s_waitcnt lgkmcnt(0)                               // lgkmcnt=0 vmcnt=-1wait for prior local read local write old=0, new=0 newLW=0 newLR=0
/* pack scheduling: packAIdx:3, packBIdx:3 */
_v_lshl_or_b32 v[vgprValuA_X0_I0+0], v49, 0x8, v[vgprValuA_X0_I0+0] // pack two int8 Vgpr to one half Vgpr
_v_lshl_or_b32 v50, v51, 0x8, v50                  // pack two int8 Vgpr to one half Vgpr
v_or_b32 v[vgprValuA_X0_I0+0], v[vgprValuA_X0_I0+0], v50 // pack two half Vgpr to one Vgpr
_v_lshl_or_b32 v[vgprValuB_X0_I0+0], v55, 0x8, v[vgprValuB_X0_I0+0] // pack two int8 Vgpr to one half Vgpr
_v_lshl_or_b32 v56, v57, 0x8, v56                  // pack two int8 Vgpr to one half Vgpr
v_or_b32 v[vgprValuB_X0_I0+0], v[vgprValuB_X0_I0+0], v56 // pack two half Vgpr to one Vgpr
_v_lshl_or_b32 v[vgprValuA_X0_I0+1], v52, 0x8, v[vgprValuA_X0_I0+1] // pack two int8 Vgpr to one half Vgpr
_v_lshl_or_b32 v53, v54, 0x8, v53                  // pack two int8 Vgpr to one half Vgpr
v_or_b32 v[vgprValuA_X0_I0+1], v[vgprValuA_X0_I0+1], v53 // pack two half Vgpr to one Vgpr
v_mfma_i32_32x32x8i8 a[0+0:15+0], v[vgprValuA_X0_I0+0+0+0], v[vgprValuB_X0_I0+0+0+0], a[0:15]
/*  mfmaIndex:1  */
_ds_load_u8 v[vgprValuA_X1_I0+0], v[vgprLocalReadAddrA] offset:18432 // L -> Reg lro=2048 swapByteOffset=16384 ti=128 vIdx=0 rIdx=0 oIdx=0 buffer=1 iui=0
_ds_load_u8 v79, v[vgprLocalReadAddrA] offset:18688 // L -> Reg lro=2048 swapByteOffset=16384 ti=128 vIdx=0 rIdx=1 oIdx=0 buffer=1 iui=0
_ds_load_u8_d16_hi v80, v[vgprLocalReadAddrA] offset:18944 // L -> Reg lro=2048 swapByteOffset=16384 ti=128 vIdx=0 rIdx=2 oIdx=0 buffer=1 iui=0
_ds_load_u8_d16_hi v81, v[vgprLocalReadAddrA] offset:19200 // L -> Reg lro=2048 swapByteOffset=16384 ti=128 vIdx=0 rIdx=3 oIdx=0 buffer=1 iui=0
_ds_load_u8 v[vgprValuB_X1_I0+0], v[vgprLocalReadAddrB] offset:18432 // L -> Reg lro=2048 swapByteOffset=16384 ti=32 vIdx=0 rIdx=0 oIdx=0 buffer=1 iui=0
_ds_load_u8 v85, v[vgprLocalReadAddrB] offset:18688 // L -> Reg lro=2048 swapByteOffset=16384 ti=32 vIdx=0 rIdx=1 oIdx=0 buffer=1 iui=0
_buffer_load_b64 v[vgprG2LA+2:vgprG2LA+2+1], v[vgprGlobalReadOffsetA+1], s[sgprSrdA:sgprSrdA+3], 0, offen offset:0 // G -> Reg 0_0_1_0
/* pack scheduling: packAIdx:6, packBIdx:3 */
_v_lshl_or_b32 v[vgprValuB_X0_I0+1], v58, 0x8, v[vgprValuB_X0_I0+1] // pack two int8 Vgpr to one half Vgpr
_v_lshl_or_b32 v59, v60, 0x8, v59                  // pack two int8 Vgpr to one half Vgpr
v_or_b32 v[vgprValuB_X0_I0+1], v[vgprValuB_X0_I0+1], v59 // pack two half Vgpr to one Vgpr
_v_lshl_or_b32 v[vgprValuB_X0_I0+2], v61, 0x8, v[vgprValuB_X0_I0+2] // pack two int8 Vgpr to one half Vgpr
_v_lshl_or_b32 v62, v63, 0x8, v62                  // pack two int8 Vgpr to one half Vgpr
v_or_b32 v[vgprValuB_X0_I0+2], v[vgprValuB_X0_I0+2], v62 // pack two half Vgpr to one Vgpr
v_mfma_i32_32x32x8i8 a[16+0:31+0], v[vgprValuA_X0_I0+1+0+0], v[vgprValuB_X0_I0+0+0+0], a[16:31]
/*  mfmaIndex:2  */
_ds_load_u8_d16_hi v86, v[vgprLocalReadAddrB] offset:18944 // L -> Reg lro=2048 swapByteOffset=16384 ti=32 vIdx=0 rIdx=2 oIdx=0 buffer=1 iui=0
_ds_load_u8_d16_hi v87, v[vgprLocalReadAddrB] offset:19200 // L -> Reg lro=2048 swapByteOffset=16384 ti=32 vIdx=0 rIdx=3 oIdx=0 buffer=1 iui=0
_ds_load_u8 v[vgprValuA_X1_I0+1], v[vgprLocalReadAddrA] offset:18560 // L -> Reg lro=2048 swapByteOffset=16384 ti=128 vIdx=1 rIdx=0 oIdx=0 buffer=1 iui=0
_ds_load_u8 v82, v[vgprLocalReadAddrA] offset:18816 // L -> Reg lro=2048 swapByteOffset=16384 ti=128 vIdx=1 rIdx=1 oIdx=0 buffer=1 iui=0
_ds_load_u8_d16_hi v83, v[vgprLocalReadAddrA] offset:19072 // L -> Reg lro=2048 swapByteOffset=16384 ti=128 vIdx=1 rIdx=2 oIdx=0 buffer=1 iui=0
_ds_load_u8_d16_hi v84, v[vgprLocalReadAddrA] offset:19328 // L -> Reg lro=2048 swapByteOffset=16384 ti=128 vIdx=1 rIdx=3 oIdx=0 buffer=1 iui=0
_buffer_load_b64 v[vgprG2LA+4:vgprG2LA+4+1], v[vgprGlobalReadOffsetA+2], s[sgprSrdA:sgprSrdA+3], 0, offen offset:0 // G -> Reg 0_0_2_0
/* pack scheduling: packAIdx:6, packBIdx:6 */
_v_lshl_or_b32 v[vgprValuB_X0_I0+3], v64, 0x8, v[vgprValuB_X0_I0+3] // pack two int8 Vgpr to one half Vgpr
_v_lshl_or_b32 v65, v66, 0x8, v65                  // pack two int8 Vgpr to one half Vgpr
v_or_b32 v[vgprValuB_X0_I0+3], v[vgprValuB_X0_I0+3], v65 // pack two half Vgpr to one Vgpr
_v_lshl_or_b32 v[vgprValuB_X0_I0+4], v67, 0x8, v[vgprValuB_X0_I0+4] // pack two int8 Vgpr to one half Vgpr
_v_lshl_or_b32 v68, v69, 0x8, v68                  // pack two int8 Vgpr to one half Vgpr
v_or_b32 v[vgprValuB_X0_I0+4], v[vgprValuB_X0_I0+4], v68 // pack two half Vgpr to one Vgpr
v_mfma_i32_32x32x8i8 a[48+0:63+0], v[vgprValuA_X0_I0+1+0+0], v[vgprValuB_X0_I0+1+0+0], a[48:63]
/*  mfmaIndex:3  */
_ds_load_u8 v[vgprValuB_X1_I0+1], v[vgprLocalReadAddrB] offset:18464 // L -> Reg lro=2048 swapByteOffset=16384 ti=32 vIdx=1 rIdx=0 oIdx=0 buffer=1 iui=0
_ds_load_u8 v88, v[vgprLocalReadAddrB] offset:18720 // L -> Reg lro=2048 swapByteOffset=16384 ti=32 vIdx=1 rIdx=1 oIdx=0 buffer=1 iui=0
_ds_load_u8_d16_hi v89, v[vgprLocalReadAddrB] offset:18976 // L -> Reg lro=2048 swapByteOffset=16384 ti=32 vIdx=1 rIdx=2 oIdx=0 buffer=1 iui=0
_ds_load_u8_d16_hi v90, v[vgprLocalReadAddrB] offset:19232 // L -> Reg lro=2048 swapByteOffset=16384 ti=32 vIdx=1 rIdx=3 oIdx=0 buffer=1 iui=0
_ds_load_u8 v[vgprValuB_X1_I0+2], v[vgprLocalReadAddrB] offset:18496 // L -> Reg lro=2048 swapByteOffset=16384 ti=32 vIdx=2 rIdx=0 oIdx=0 buffer=1 iui=0
_ds_load_u8 v91, v[vgprLocalReadAddrB] offset:18752 // L -> Reg lro=2048 swapByteOffset=16384 ti=32 vIdx=2 rIdx=1 oIdx=0 buffer=1 iui=0
_buffer_load_b64 v[vgprG2LA+6:vgprG2LA+6+1], v[vgprGlobalReadOffsetA+3], s[sgprSrdA:sgprSrdA+3], 0, offen offset:0 // G -> Reg 0_0_3_0
/* pack scheduling: packAIdx:6, packBIdx:6 */
_v_lshl_or_b32 v[vgprValuB_X0_I0+5], v70, 0x8, v[vgprValuB_X0_I0+5] // pack two int8 Vgpr to one half Vgpr
_v_lshl_or_b32 v71, v72, 0x8, v71                  // pack two int8 Vgpr to one half Vgpr
v_or_b32 v[vgprValuB_X0_I0+5], v[vgprValuB_X0_I0+5], v71 // pack two half Vgpr to one Vgpr
_v_lshl_or_b32 v[vgprValuB_X0_I0+6], v73, 0x8, v[vgprValuB_X0_I0+6] // pack two int8 Vgpr to one half Vgpr
_v_lshl_or_b32 v74, v75, 0x8, v74                  // pack two int8 Vgpr to one half Vgpr
v_or_b32 v[vgprValuB_X0_I0+6], v[vgprValuB_X0_I0+6], v74 // pack two half Vgpr to one Vgpr
v_mfma_i32_32x32x8i8 a[32+0:47+0], v[vgprValuA_X0_I0+0+0+0], v[vgprValuB_X0_I0+1+0+0], a[32:47]
/*  mfmaIndex:4  */
_ds_load_u8_d16_hi v92, v[vgprLocalReadAddrB] offset:19008 // L -> Reg lro=2048 swapByteOffset=16384 ti=32 vIdx=2 rIdx=2 oIdx=0 buffer=1 iui=0
_ds_load_u8_d16_hi v93, v[vgprLocalReadAddrB] offset:19264 // L -> Reg lro=2048 swapByteOffset=16384 ti=32 vIdx=2 rIdx=3 oIdx=0 buffer=1 iui=0
_ds_load_u8 v[vgprValuB_X1_I0+3], v[vgprLocalReadAddrB] offset:18528 // L -> Reg lro=2048 swapByteOffset=16384 ti=32 vIdx=3 rIdx=0 oIdx=0 buffer=1 iui=0
_ds_load_u8 v94, v[vgprLocalReadAddrB] offset:18784 // L -> Reg lro=2048 swapByteOffset=16384 ti=32 vIdx=3 rIdx=1 oIdx=0 buffer=1 iui=0
_ds_load_u8_d16_hi v95, v[vgprLocalReadAddrB] offset:19040 // L -> Reg lro=2048 swapByteOffset=16384 ti=32 vIdx=3 rIdx=2 oIdx=0 buffer=1 iui=0
_ds_load_u8_d16_hi v96, v[vgprLocalReadAddrB] offset:19296 // L -> Reg lro=2048 swapByteOffset=16384 ti=32 vIdx=3 rIdx=3 oIdx=0 buffer=1 iui=0
_buffer_load_b64 v[vgprG2LB+0:vgprG2LB+0+1], v[vgprGlobalReadOffsetB+0], s[sgprSrdB:sgprSrdB+3], 0, offen offset:0 // G -> Reg 0_0_0_0
/* pack scheduling: packAIdx:6, packBIdx:9 */
_v_lshl_or_b32 v[vgprValuB_X0_I0+7], v76, 0x8, v[vgprValuB_X0_I0+7] // pack two int8 Vgpr to one half Vgpr
_v_lshl_or_b32 v77, v78, 0x8, v77                  // pack two int8 Vgpr to one half Vgpr
v_or_b32 v[vgprValuB_X0_I0+7], v[vgprValuB_X0_I0+7], v77 // pack two half Vgpr to one Vgpr
v_mfma_i32_32x32x8i8 a[64+0:79+0], v[vgprValuA_X0_I0+0+0+0], v[vgprValuB_X0_I0+2+0+0], a[64:79]
/*  mfmaIndex:5  */
_ds_load_u8 v[vgprValuB_X1_I0+4], v[vgprLocalReadAddrB] offset:18560 // L -> Reg lro=2048 swapByteOffset=16384 ti=32 vIdx=4 rIdx=0 oIdx=0 buffer=1 iui=0
_ds_load_u8 v97, v[vgprLocalReadAddrB] offset:18816 // L -> Reg lro=2048 swapByteOffset=16384 ti=32 vIdx=4 rIdx=1 oIdx=0 buffer=1 iui=0
_ds_load_u8_d16_hi v98, v[vgprLocalReadAddrB] offset:19072 // L -> Reg lro=2048 swapByteOffset=16384 ti=32 vIdx=4 rIdx=2 oIdx=0 buffer=1 iui=0
_ds_load_u8_d16_hi v99, v[vgprLocalReadAddrB] offset:19328 // L -> Reg lro=2048 swapByteOffset=16384 ti=32 vIdx=4 rIdx=3 oIdx=0 buffer=1 iui=0
_ds_load_u8 v[vgprValuB_X1_I0+5], v[vgprLocalReadAddrB] offset:18592 // L -> Reg lro=2048 swapByteOffset=16384 ti=32 vIdx=5 rIdx=0 oIdx=0 buffer=1 iui=0
_ds_load_u8 v100, v[vgprLocalReadAddrB] offset:18848 // L -> Reg lro=2048 swapByteOffset=16384 ti=32 vIdx=5 rIdx=1 oIdx=0 buffer=1 iui=0
_buffer_load_b64 v[vgprG2LB+2:vgprG2LB+2+1], v[vgprGlobalReadOffsetB+1], s[sgprSrdB:sgprSrdB+3], 0, offen offset:0 // G -> Reg 0_0_1_0
v_mfma_i32_32x32x8i8 a[80+0:95+0], v[vgprValuA_X0_I0+1+0+0], v[vgprValuB_X0_I0+2+0+0], a[80:95]
/*  mfmaIndex:6  */
_ds_load_u8_d16_hi v101, v[vgprLocalReadAddrB] offset:19104 // L -> Reg lro=2048 swapByteOffset=16384 ti=32 vIdx=5 rIdx=2 oIdx=0 buffer=1 iui=0
_ds_load_u8_d16_hi v102, v[vgprLocalReadAddrB] offset:19360 // L -> Reg lro=2048 swapByteOffset=16384 ti=32 vIdx=5 rIdx=3 oIdx=0 buffer=1 iui=0
_ds_load_u8 v[vgprValuB_X1_I0+6], v[vgprLocalReadAddrB] offset:18624 // L -> Reg lro=2048 swapByteOffset=16384 ti=32 vIdx=6 rIdx=0 oIdx=0 buffer=1 iui=0
_ds_load_u8 v103, v[vgprLocalReadAddrB] offset:18880 // L -> Reg lro=2048 swapByteOffset=16384 ti=32 vIdx=6 rIdx=1 oIdx=0 buffer=1 iui=0
_ds_load_u8_d16_hi v104, v[vgprLocalReadAddrB] offset:19136 // L -> Reg lro=2048 swapByteOffset=16384 ti=32 vIdx=6 rIdx=2 oIdx=0 buffer=1 iui=0
_ds_load_u8_d16_hi v105, v[vgprLocalReadAddrB] offset:19392 // L -> Reg lro=2048 swapByteOffset=16384 ti=32 vIdx=6 rIdx=3 oIdx=0 buffer=1 iui=0
_buffer_load_b64 v[vgprG2LB+4:vgprG2LB+4+1], v[vgprGlobalReadOffsetB+2], s[sgprSrdB:sgprSrdB+3], 0, offen offset:0 // G -> Reg 0_0_2_0
v_mfma_i32_32x32x8i8 a[112+0:127+0], v[vgprValuA_X0_I0+1+0+0], v[vgprValuB_X0_I0+3+0+0], a[112:127]
/*  mfmaIndex:7  */
_ds_load_u8 v[vgprValuB_X1_I0+7], v[vgprLocalReadAddrB] offset:18656 // L -> Reg lro=2048 swapByteOffset=16384 ti=32 vIdx=7 rIdx=0 oIdx=0 buffer=1 iui=0
_ds_load_u8 v106, v[vgprLocalReadAddrB] offset:18912 // L -> Reg lro=2048 swapByteOffset=16384 ti=32 vIdx=7 rIdx=1 oIdx=0 buffer=1 iui=0
_ds_load_u8_d16_hi v107, v[vgprLocalReadAddrB] offset:19168 // L -> Reg lro=2048 swapByteOffset=16384 ti=32 vIdx=7 rIdx=2 oIdx=0 buffer=1 iui=0
_ds_load_u8_d16_hi v108, v[vgprLocalReadAddrB] offset:19424 // L -> Reg lro=2048 swapByteOffset=16384 ti=32 vIdx=7 rIdx=3 oIdx=0 buffer=1 iui=0
/* localReadsVacancy: latencyLeft 5 */
_buffer_load_b64 v[vgprG2LB+6:vgprG2LB+6+1], v[vgprGlobalReadOffsetB+3], s[sgprSrdB:sgprSrdB+3], 0, offen offset:0 // G -> Reg 0_0_3_0
v_mfma_i32_32x32x8i8 a[96+0:111+0], v[vgprValuA_X0_I0+0+0+0], v[vgprValuB_X0_I0+3+0+0], a[96:111]
/*  mfmaIndex:8  */
/* localReadsVacancy: latencyLeft 13 */

/* global read inc A loopL */
s_add_u32 s[sgprSrdA+0], s[sgprSrdA+0], s[sgprGlobalReadIncsA+0] // gra SRD += inc(lower)
s_addc_u32  s[sgprSrdA+1], s[sgprSrdA+1], 0        // gra SRD += inc(upper)
s_sub_u32 s[sgprShadowLimitA+0], s[sgprShadowLimitA+0], s[sgprGlobalReadIncsA+0] // limit -= inc)
s_subb_u32 s[sgprShadowLimitA+1], s[sgprShadowLimitA+1], 0 // limit -= inc)
s_cmp_eq_u32 s[sgprShadowLimitA+1], 0              // are we within 2^32?
s_cmov_b32 s[sgprSrdA+2], s[sgprShadowLimitA+0]    // Move shadow to real if we are within 2^32

/* global read inc B loopL */
s_add_u32 s[sgprSrdB+0], s[sgprSrdB+0], s[sgprGlobalReadIncsB+0] // gra SRD += inc(lower)
v_mfma_i32_32x32x8i8 a[128+0:143+0], v[vgprValuA_X0_I0+0+0+0], v[vgprValuB_X0_I0+4+0+0], a[128:143]
/*  mfmaIndex:9  */
/* localReadsVacancy: latencyLeft 13 */
s_addc_u32  s[sgprSrdB+1], s[sgprSrdB+1], 0        // gra SRD += inc(upper)
s_sub_u32 s[sgprShadowLimitB+0], s[sgprShadowLimitB+0], s[sgprGlobalReadIncsB+0] // limit -= inc)
s_subb_u32 s[sgprShadowLimitB+1], s[sgprShadowLimitB+1], 0 // limit -= inc)
s_cmp_eq_u32 s[sgprShadowLimitB+1], 0              // are we within 2^32?
s_cmov_b32 s[sgprSrdB+2], s[sgprShadowLimitB+0]    // Move shadow to real if we are within 2^32
v_mfma_i32_32x32x8i8 a[144+0:159+0], v[vgprValuA_X0_I0+1+0+0], v[vgprValuB_X0_I0+4+0+0], a[144:159]
/*  mfmaIndex:10  */
/* localReadsVacancy: latencyLeft 13 */
v_mfma_i32_32x32x8i8 a[176+0:191+0], v[vgprValuA_X0_I0+1+0+0], v[vgprValuB_X0_I0+5+0+0], a[176:191]
/*  mfmaIndex:11  */
/* localReadsVacancy: latencyLeft 13 */
	;; [unrolled: 3-line block ×6, first 2 shown]
v_mfma_i32_32x32x8i8 a[224+0:239+0], v[vgprValuA_X0_I0+0+0+0], v[vgprValuB_X0_I0+7+0+0], a[224:239]
/* numPrefetchIter=0 */
/* dataAtIterA=-1 numReadsIterA=1 skipReadsIterA=1 readsPerIterA=8 */
/* dataAtIterB=-1 numReadsIterB=1 skipReadsIterB=1 readsPerIterB=32 */


/* iter 1 */

/*  grEndMfmaIndex:7, lwStartMfmaIndex:47, lwEndMfmaIndex:54  */
/*  numMfmaForLR:7, barrierMfmaIndex:56 */
/*  mfmaIndex:16  */
_ds_load_u8 v[vgprValuA_X0_I0+0], v[vgprLocalReadAddrA] offset:20480 // L -> Reg lro=4096 swapByteOffset=16384 ti=128 vIdx=0 rIdx=0 oIdx=0 buffer=0 iui=0
_ds_load_u8 v49, v[vgprLocalReadAddrA] offset:20736 // L -> Reg lro=4096 swapByteOffset=16384 ti=128 vIdx=0 rIdx=1 oIdx=0 buffer=0 iui=0
_ds_load_u8_d16_hi v50, v[vgprLocalReadAddrA] offset:20992 // L -> Reg lro=4096 swapByteOffset=16384 ti=128 vIdx=0 rIdx=2 oIdx=0 buffer=0 iui=0
_ds_load_u8_d16_hi v51, v[vgprLocalReadAddrA] offset:21248 // L -> Reg lro=4096 swapByteOffset=16384 ti=128 vIdx=0 rIdx=3 oIdx=0 buffer=0 iui=0
_ds_load_u8 v[vgprValuB_X0_I0+0], v[vgprLocalReadAddrB] offset:20480 // L -> Reg lro=4096 swapByteOffset=16384 ti=32 vIdx=0 rIdx=0 oIdx=0 buffer=0 iui=0
_ds_load_u8 v55, v[vgprLocalReadAddrB] offset:20736 // L -> Reg lro=4096 swapByteOffset=16384 ti=32 vIdx=0 rIdx=1 oIdx=0 buffer=0 iui=0
s_waitcnt lgkmcnt(6)                               // lgkmcnt=0 vmcnt=-1wait for prior local read local write old=0, new=6 newLW=0 newLR=6
/* pack scheduling: packAIdx:3, packBIdx:3 */
_v_lshl_or_b32 v[vgprValuA_X1_I0+0], v79, 0x8, v[vgprValuA_X1_I0+0] // pack two int8 Vgpr to one half Vgpr
_v_lshl_or_b32 v80, v81, 0x8, v80                  // pack two int8 Vgpr to one half Vgpr
v_or_b32 v[vgprValuA_X1_I0+0], v[vgprValuA_X1_I0+0], v80 // pack two half Vgpr to one Vgpr
_v_lshl_or_b32 v[vgprValuB_X1_I0+0], v85, 0x8, v[vgprValuB_X1_I0+0] // pack two int8 Vgpr to one half Vgpr
_v_lshl_or_b32 v86, v87, 0x8, v86                  // pack two int8 Vgpr to one half Vgpr
v_or_b32 v[vgprValuB_X1_I0+0], v[vgprValuB_X1_I0+0], v86 // pack two half Vgpr to one Vgpr
_v_lshl_or_b32 v[vgprValuA_X1_I0+1], v82, 0x8, v[vgprValuA_X1_I0+1] // pack two int8 Vgpr to one half Vgpr
_v_lshl_or_b32 v83, v84, 0x8, v83                  // pack two int8 Vgpr to one half Vgpr
v_or_b32 v[vgprValuA_X1_I0+1], v[vgprValuA_X1_I0+1], v83 // pack two half Vgpr to one Vgpr
v_mfma_i32_32x32x8i8 a[0+0:15+0], v[vgprValuA_X1_I0+0+0+0], v[vgprValuB_X1_I0+0+0+0], a[0:15]
/*  mfmaIndex:17  */
_ds_load_u8_d16_hi v56, v[vgprLocalReadAddrB] offset:20992 // L -> Reg lro=4096 swapByteOffset=16384 ti=32 vIdx=0 rIdx=2 oIdx=0 buffer=0 iui=0
_ds_load_u8_d16_hi v57, v[vgprLocalReadAddrB] offset:21248 // L -> Reg lro=4096 swapByteOffset=16384 ti=32 vIdx=0 rIdx=3 oIdx=0 buffer=0 iui=0
_ds_load_u8 v[vgprValuA_X0_I0+1], v[vgprLocalReadAddrA] offset:20608 // L -> Reg lro=4096 swapByteOffset=16384 ti=128 vIdx=1 rIdx=0 oIdx=0 buffer=0 iui=0
_ds_load_u8 v52, v[vgprLocalReadAddrA] offset:20864 // L -> Reg lro=4096 swapByteOffset=16384 ti=128 vIdx=1 rIdx=1 oIdx=0 buffer=0 iui=0
_ds_load_u8_d16_hi v53, v[vgprLocalReadAddrA] offset:21120 // L -> Reg lro=4096 swapByteOffset=16384 ti=128 vIdx=1 rIdx=2 oIdx=0 buffer=0 iui=0
_ds_load_u8_d16_hi v54, v[vgprLocalReadAddrA] offset:21376 // L -> Reg lro=4096 swapByteOffset=16384 ti=128 vIdx=1 rIdx=3 oIdx=0 buffer=0 iui=0
/* pack scheduling: packAIdx:6, packBIdx:3 */
_v_lshl_or_b32 v[vgprValuB_X1_I0+1], v88, 0x8, v[vgprValuB_X1_I0+1] // pack two int8 Vgpr to one half Vgpr
_v_lshl_or_b32 v89, v90, 0x8, v89                  // pack two int8 Vgpr to one half Vgpr
v_or_b32 v[vgprValuB_X1_I0+1], v[vgprValuB_X1_I0+1], v89 // pack two half Vgpr to one Vgpr
_v_lshl_or_b32 v[vgprValuB_X1_I0+2], v91, 0x8, v[vgprValuB_X1_I0+2] // pack two int8 Vgpr to one half Vgpr
_v_lshl_or_b32 v92, v93, 0x8, v92                  // pack two int8 Vgpr to one half Vgpr
v_or_b32 v[vgprValuB_X1_I0+2], v[vgprValuB_X1_I0+2], v92 // pack two half Vgpr to one Vgpr
v_mfma_i32_32x32x8i8 a[16+0:31+0], v[vgprValuA_X1_I0+1+0+0], v[vgprValuB_X1_I0+0+0+0], a[16:31]
/*  mfmaIndex:18  */
_ds_load_u8 v[vgprValuB_X0_I0+1], v[vgprLocalReadAddrB] offset:20512 // L -> Reg lro=4096 swapByteOffset=16384 ti=32 vIdx=1 rIdx=0 oIdx=0 buffer=0 iui=0
_ds_load_u8 v58, v[vgprLocalReadAddrB] offset:20768 // L -> Reg lro=4096 swapByteOffset=16384 ti=32 vIdx=1 rIdx=1 oIdx=0 buffer=0 iui=0
_ds_load_u8_d16_hi v59, v[vgprLocalReadAddrB] offset:21024 // L -> Reg lro=4096 swapByteOffset=16384 ti=32 vIdx=1 rIdx=2 oIdx=0 buffer=0 iui=0
_ds_load_u8_d16_hi v60, v[vgprLocalReadAddrB] offset:21280 // L -> Reg lro=4096 swapByteOffset=16384 ti=32 vIdx=1 rIdx=3 oIdx=0 buffer=0 iui=0
_ds_load_u8 v[vgprValuB_X0_I0+2], v[vgprLocalReadAddrB] offset:20544 // L -> Reg lro=4096 swapByteOffset=16384 ti=32 vIdx=2 rIdx=0 oIdx=0 buffer=0 iui=0
_ds_load_u8 v61, v[vgprLocalReadAddrB] offset:20800 // L -> Reg lro=4096 swapByteOffset=16384 ti=32 vIdx=2 rIdx=1 oIdx=0 buffer=0 iui=0
/* pack scheduling: packAIdx:6, packBIdx:6 */
_v_lshl_or_b32 v[vgprValuB_X1_I0+3], v94, 0x8, v[vgprValuB_X1_I0+3] // pack two int8 Vgpr to one half Vgpr
_v_lshl_or_b32 v95, v96, 0x8, v95                  // pack two int8 Vgpr to one half Vgpr
v_or_b32 v[vgprValuB_X1_I0+3], v[vgprValuB_X1_I0+3], v95 // pack two half Vgpr to one Vgpr
_v_lshl_or_b32 v[vgprValuB_X1_I0+4], v97, 0x8, v[vgprValuB_X1_I0+4] // pack two int8 Vgpr to one half Vgpr
_v_lshl_or_b32 v98, v99, 0x8, v98                  // pack two int8 Vgpr to one half Vgpr
v_or_b32 v[vgprValuB_X1_I0+4], v[vgprValuB_X1_I0+4], v98 // pack two half Vgpr to one Vgpr
v_mfma_i32_32x32x8i8 a[48+0:63+0], v[vgprValuA_X1_I0+1+0+0], v[vgprValuB_X1_I0+1+0+0], a[48:63]
/*  mfmaIndex:19  */
_ds_load_u8_d16_hi v62, v[vgprLocalReadAddrB] offset:21056 // L -> Reg lro=4096 swapByteOffset=16384 ti=32 vIdx=2 rIdx=2 oIdx=0 buffer=0 iui=0
_ds_load_u8_d16_hi v63, v[vgprLocalReadAddrB] offset:21312 // L -> Reg lro=4096 swapByteOffset=16384 ti=32 vIdx=2 rIdx=3 oIdx=0 buffer=0 iui=0
_ds_load_u8 v[vgprValuB_X0_I0+3], v[vgprLocalReadAddrB] offset:20576 // L -> Reg lro=4096 swapByteOffset=16384 ti=32 vIdx=3 rIdx=0 oIdx=0 buffer=0 iui=0
_ds_load_u8 v64, v[vgprLocalReadAddrB] offset:20832 // L -> Reg lro=4096 swapByteOffset=16384 ti=32 vIdx=3 rIdx=1 oIdx=0 buffer=0 iui=0
_ds_load_u8_d16_hi v65, v[vgprLocalReadAddrB] offset:21088 // L -> Reg lro=4096 swapByteOffset=16384 ti=32 vIdx=3 rIdx=2 oIdx=0 buffer=0 iui=0
_ds_load_u8_d16_hi v66, v[vgprLocalReadAddrB] offset:21344 // L -> Reg lro=4096 swapByteOffset=16384 ti=32 vIdx=3 rIdx=3 oIdx=0 buffer=0 iui=0
/* pack scheduling: packAIdx:6, packBIdx:6 */
_v_lshl_or_b32 v[vgprValuB_X1_I0+5], v100, 0x8, v[vgprValuB_X1_I0+5] // pack two int8 Vgpr to one half Vgpr
_v_lshl_or_b32 v101, v102, 0x8, v101               // pack two int8 Vgpr to one half Vgpr
v_or_b32 v[vgprValuB_X1_I0+5], v[vgprValuB_X1_I0+5], v101 // pack two half Vgpr to one Vgpr
_v_lshl_or_b32 v[vgprValuB_X1_I0+6], v103, 0x8, v[vgprValuB_X1_I0+6] // pack two int8 Vgpr to one half Vgpr
_v_lshl_or_b32 v104, v105, 0x8, v104               // pack two int8 Vgpr to one half Vgpr
v_or_b32 v[vgprValuB_X1_I0+6], v[vgprValuB_X1_I0+6], v104 // pack two half Vgpr to one Vgpr
v_mfma_i32_32x32x8i8 a[32+0:47+0], v[vgprValuA_X1_I0+0+0+0], v[vgprValuB_X1_I0+1+0+0], a[32:47]
/*  mfmaIndex:20  */
_ds_load_u8 v[vgprValuB_X0_I0+4], v[vgprLocalReadAddrB] offset:20608 // L -> Reg lro=4096 swapByteOffset=16384 ti=32 vIdx=4 rIdx=0 oIdx=0 buffer=0 iui=0
_ds_load_u8 v67, v[vgprLocalReadAddrB] offset:20864 // L -> Reg lro=4096 swapByteOffset=16384 ti=32 vIdx=4 rIdx=1 oIdx=0 buffer=0 iui=0
_ds_load_u8_d16_hi v68, v[vgprLocalReadAddrB] offset:21120 // L -> Reg lro=4096 swapByteOffset=16384 ti=32 vIdx=4 rIdx=2 oIdx=0 buffer=0 iui=0
_ds_load_u8_d16_hi v69, v[vgprLocalReadAddrB] offset:21376 // L -> Reg lro=4096 swapByteOffset=16384 ti=32 vIdx=4 rIdx=3 oIdx=0 buffer=0 iui=0
_ds_load_u8 v[vgprValuB_X0_I0+5], v[vgprLocalReadAddrB] offset:20640 // L -> Reg lro=4096 swapByteOffset=16384 ti=32 vIdx=5 rIdx=0 oIdx=0 buffer=0 iui=0
_ds_load_u8 v70, v[vgprLocalReadAddrB] offset:20896 // L -> Reg lro=4096 swapByteOffset=16384 ti=32 vIdx=5 rIdx=1 oIdx=0 buffer=0 iui=0
/* pack scheduling: packAIdx:6, packBIdx:9 */
_v_lshl_or_b32 v[vgprValuB_X1_I0+7], v106, 0x8, v[vgprValuB_X1_I0+7] // pack two int8 Vgpr to one half Vgpr
_v_lshl_or_b32 v107, v108, 0x8, v107               // pack two int8 Vgpr to one half Vgpr
v_or_b32 v[vgprValuB_X1_I0+7], v[vgprValuB_X1_I0+7], v107 // pack two half Vgpr to one Vgpr
v_mfma_i32_32x32x8i8 a[64+0:79+0], v[vgprValuA_X1_I0+0+0+0], v[vgprValuB_X1_I0+2+0+0], a[64:79]
/*  mfmaIndex:21  */
_ds_load_u8_d16_hi v71, v[vgprLocalReadAddrB] offset:21152 // L -> Reg lro=4096 swapByteOffset=16384 ti=32 vIdx=5 rIdx=2 oIdx=0 buffer=0 iui=0
_ds_load_u8_d16_hi v72, v[vgprLocalReadAddrB] offset:21408 // L -> Reg lro=4096 swapByteOffset=16384 ti=32 vIdx=5 rIdx=3 oIdx=0 buffer=0 iui=0
_ds_load_u8 v[vgprValuB_X0_I0+6], v[vgprLocalReadAddrB] offset:20672 // L -> Reg lro=4096 swapByteOffset=16384 ti=32 vIdx=6 rIdx=0 oIdx=0 buffer=0 iui=0
_ds_load_u8 v73, v[vgprLocalReadAddrB] offset:20928 // L -> Reg lro=4096 swapByteOffset=16384 ti=32 vIdx=6 rIdx=1 oIdx=0 buffer=0 iui=0
_ds_load_u8_d16_hi v74, v[vgprLocalReadAddrB] offset:21184 // L -> Reg lro=4096 swapByteOffset=16384 ti=32 vIdx=6 rIdx=2 oIdx=0 buffer=0 iui=0
_ds_load_u8_d16_hi v75, v[vgprLocalReadAddrB] offset:21440 // L -> Reg lro=4096 swapByteOffset=16384 ti=32 vIdx=6 rIdx=3 oIdx=0 buffer=0 iui=0
v_mfma_i32_32x32x8i8 a[80+0:95+0], v[vgprValuA_X1_I0+1+0+0], v[vgprValuB_X1_I0+2+0+0], a[80:95]
/*  mfmaIndex:22  */
_ds_load_u8 v[vgprValuB_X0_I0+7], v[vgprLocalReadAddrB] offset:20704 // L -> Reg lro=4096 swapByteOffset=16384 ti=32 vIdx=7 rIdx=0 oIdx=0 buffer=0 iui=0
_ds_load_u8 v76, v[vgprLocalReadAddrB] offset:20960 // L -> Reg lro=4096 swapByteOffset=16384 ti=32 vIdx=7 rIdx=1 oIdx=0 buffer=0 iui=0
_ds_load_u8_d16_hi v77, v[vgprLocalReadAddrB] offset:21216 // L -> Reg lro=4096 swapByteOffset=16384 ti=32 vIdx=7 rIdx=2 oIdx=0 buffer=0 iui=0
_ds_load_u8_d16_hi v78, v[vgprLocalReadAddrB] offset:21472 // L -> Reg lro=4096 swapByteOffset=16384 ti=32 vIdx=7 rIdx=3 oIdx=0 buffer=0 iui=0
/* localReadsVacancy: latencyLeft 5 */
v_mfma_i32_32x32x8i8 a[112+0:127+0], v[vgprValuA_X1_I0+1+0+0], v[vgprValuB_X1_I0+3+0+0], a[112:127]
/*  mfmaIndex:23  */
/* localReadsVacancy: latencyLeft 13 */
v_mfma_i32_32x32x8i8 a[96+0:111+0], v[vgprValuA_X1_I0+0+0+0], v[vgprValuB_X1_I0+3+0+0], a[96:111]
/*  mfmaIndex:24  */
	;; [unrolled: 3-line block ×9, first 2 shown]
/* localReadsVacancy: latencyLeft 13 */
v_mfma_i32_32x32x8i8 a[224+0:239+0], v[vgprValuA_X1_I0+0+0+0], v[vgprValuB_X1_I0+7+0+0], a[224:239]
/* numPrefetchIter=0 */
/* dataAtIterA=0 numReadsIterA=2 skipReadsIterA=1 readsPerIterA=8 */
/* dataAtIterB=0 numReadsIterB=2 skipReadsIterB=1 readsPerIterB=32 */


/* iter 2 (reset local read pointers iteration)  (swap local read pointers iteration)  */

/*  grEndMfmaIndex:7, lwStartMfmaIndex:47, lwEndMfmaIndex:54  */
/*  numMfmaForLR:7, barrierMfmaIndex:56 */
/*  mfmaIndex:32  */
_ds_load_u8 v[vgprValuA_X1_I0+0], v[vgprLocalReadAddrA] offset:22528 // L -> Reg lro=6144 swapByteOffset=16384 ti=128 vIdx=0 rIdx=0 oIdx=0 buffer=1 iui=0
_ds_load_u8 v79, v[vgprLocalReadAddrA] offset:22784 // L -> Reg lro=6144 swapByteOffset=16384 ti=128 vIdx=0 rIdx=1 oIdx=0 buffer=1 iui=0
_ds_load_u8_d16_hi v80, v[vgprLocalReadAddrA] offset:23040 // L -> Reg lro=6144 swapByteOffset=16384 ti=128 vIdx=0 rIdx=2 oIdx=0 buffer=1 iui=0
_ds_load_u8_d16_hi v81, v[vgprLocalReadAddrA] offset:23296 // L -> Reg lro=6144 swapByteOffset=16384 ti=128 vIdx=0 rIdx=3 oIdx=0 buffer=1 iui=0
_ds_load_u8 v[vgprValuB_X1_I0+0], v[vgprLocalReadAddrB] offset:22528 // L -> Reg lro=6144 swapByteOffset=16384 ti=32 vIdx=0 rIdx=0 oIdx=0 buffer=1 iui=0
_ds_load_u8 v85, v[vgprLocalReadAddrB] offset:22784 // L -> Reg lro=6144 swapByteOffset=16384 ti=32 vIdx=0 rIdx=1 oIdx=0 buffer=1 iui=0
s_waitcnt lgkmcnt(6)                               // lgkmcnt=0 vmcnt=-1wait for prior local read local write old=0, new=6 newLW=0 newLR=6
/* pack scheduling: packAIdx:3, packBIdx:3 */
_v_lshl_or_b32 v[vgprValuA_X0_I0+0], v49, 0x8, v[vgprValuA_X0_I0+0] // pack two int8 Vgpr to one half Vgpr
_v_lshl_or_b32 v50, v51, 0x8, v50                  // pack two int8 Vgpr to one half Vgpr
v_or_b32 v[vgprValuA_X0_I0+0], v[vgprValuA_X0_I0+0], v50 // pack two half Vgpr to one Vgpr
_v_lshl_or_b32 v[vgprValuB_X0_I0+0], v55, 0x8, v[vgprValuB_X0_I0+0] // pack two int8 Vgpr to one half Vgpr
_v_lshl_or_b32 v56, v57, 0x8, v56                  // pack two int8 Vgpr to one half Vgpr
v_or_b32 v[vgprValuB_X0_I0+0], v[vgprValuB_X0_I0+0], v56 // pack two half Vgpr to one Vgpr
_v_lshl_or_b32 v[vgprValuA_X0_I0+1], v52, 0x8, v[vgprValuA_X0_I0+1] // pack two int8 Vgpr to one half Vgpr
_v_lshl_or_b32 v53, v54, 0x8, v53                  // pack two int8 Vgpr to one half Vgpr
v_or_b32 v[vgprValuA_X0_I0+1], v[vgprValuA_X0_I0+1], v53 // pack two half Vgpr to one Vgpr
v_mfma_i32_32x32x8i8 a[0+0:15+0], v[vgprValuA_X0_I0+0+0+0], v[vgprValuB_X0_I0+0+0+0], a[0:15]
/*  mfmaIndex:33  */
_ds_load_u8_d16_hi v86, v[vgprLocalReadAddrB] offset:23040 // L -> Reg lro=6144 swapByteOffset=16384 ti=32 vIdx=0 rIdx=2 oIdx=0 buffer=1 iui=0
_ds_load_u8_d16_hi v87, v[vgprLocalReadAddrB] offset:23296 // L -> Reg lro=6144 swapByteOffset=16384 ti=32 vIdx=0 rIdx=3 oIdx=0 buffer=1 iui=0
_ds_load_u8 v[vgprValuA_X1_I0+1], v[vgprLocalReadAddrA] offset:22656 // L -> Reg lro=6144 swapByteOffset=16384 ti=128 vIdx=1 rIdx=0 oIdx=0 buffer=1 iui=0
_ds_load_u8 v82, v[vgprLocalReadAddrA] offset:22912 // L -> Reg lro=6144 swapByteOffset=16384 ti=128 vIdx=1 rIdx=1 oIdx=0 buffer=1 iui=0
_ds_load_u8_d16_hi v83, v[vgprLocalReadAddrA] offset:23168 // L -> Reg lro=6144 swapByteOffset=16384 ti=128 vIdx=1 rIdx=2 oIdx=0 buffer=1 iui=0
_ds_load_u8_d16_hi v84, v[vgprLocalReadAddrA] offset:23424 // L -> Reg lro=6144 swapByteOffset=16384 ti=128 vIdx=1 rIdx=3 oIdx=0 buffer=1 iui=0
/* pack scheduling: packAIdx:6, packBIdx:3 */
_v_lshl_or_b32 v[vgprValuB_X0_I0+1], v58, 0x8, v[vgprValuB_X0_I0+1] // pack two int8 Vgpr to one half Vgpr
_v_lshl_or_b32 v59, v60, 0x8, v59                  // pack two int8 Vgpr to one half Vgpr
v_or_b32 v[vgprValuB_X0_I0+1], v[vgprValuB_X0_I0+1], v59 // pack two half Vgpr to one Vgpr
_v_lshl_or_b32 v[vgprValuB_X0_I0+2], v61, 0x8, v[vgprValuB_X0_I0+2] // pack two int8 Vgpr to one half Vgpr
_v_lshl_or_b32 v62, v63, 0x8, v62                  // pack two int8 Vgpr to one half Vgpr
v_or_b32 v[vgprValuB_X0_I0+2], v[vgprValuB_X0_I0+2], v62 // pack two half Vgpr to one Vgpr
v_mfma_i32_32x32x8i8 a[16+0:31+0], v[vgprValuA_X0_I0+1+0+0], v[vgprValuB_X0_I0+0+0+0], a[16:31]
/*  mfmaIndex:34  */
_ds_load_u8 v[vgprValuB_X1_I0+1], v[vgprLocalReadAddrB] offset:22560 // L -> Reg lro=6144 swapByteOffset=16384 ti=32 vIdx=1 rIdx=0 oIdx=0 buffer=1 iui=0
_ds_load_u8 v88, v[vgprLocalReadAddrB] offset:22816 // L -> Reg lro=6144 swapByteOffset=16384 ti=32 vIdx=1 rIdx=1 oIdx=0 buffer=1 iui=0
_ds_load_u8_d16_hi v89, v[vgprLocalReadAddrB] offset:23072 // L -> Reg lro=6144 swapByteOffset=16384 ti=32 vIdx=1 rIdx=2 oIdx=0 buffer=1 iui=0
_ds_load_u8_d16_hi v90, v[vgprLocalReadAddrB] offset:23328 // L -> Reg lro=6144 swapByteOffset=16384 ti=32 vIdx=1 rIdx=3 oIdx=0 buffer=1 iui=0
_ds_load_u8 v[vgprValuB_X1_I0+2], v[vgprLocalReadAddrB] offset:22592 // L -> Reg lro=6144 swapByteOffset=16384 ti=32 vIdx=2 rIdx=0 oIdx=0 buffer=1 iui=0
_ds_load_u8 v91, v[vgprLocalReadAddrB] offset:22848 // L -> Reg lro=6144 swapByteOffset=16384 ti=32 vIdx=2 rIdx=1 oIdx=0 buffer=1 iui=0
/* pack scheduling: packAIdx:6, packBIdx:6 */
_v_lshl_or_b32 v[vgprValuB_X0_I0+3], v64, 0x8, v[vgprValuB_X0_I0+3] // pack two int8 Vgpr to one half Vgpr
_v_lshl_or_b32 v65, v66, 0x8, v65                  // pack two int8 Vgpr to one half Vgpr
v_or_b32 v[vgprValuB_X0_I0+3], v[vgprValuB_X0_I0+3], v65 // pack two half Vgpr to one Vgpr
_v_lshl_or_b32 v[vgprValuB_X0_I0+4], v67, 0x8, v[vgprValuB_X0_I0+4] // pack two int8 Vgpr to one half Vgpr
_v_lshl_or_b32 v68, v69, 0x8, v68                  // pack two int8 Vgpr to one half Vgpr
v_or_b32 v[vgprValuB_X0_I0+4], v[vgprValuB_X0_I0+4], v68 // pack two half Vgpr to one Vgpr
v_mfma_i32_32x32x8i8 a[48+0:63+0], v[vgprValuA_X0_I0+1+0+0], v[vgprValuB_X0_I0+1+0+0], a[48:63]
/*  mfmaIndex:35  */
_ds_load_u8_d16_hi v92, v[vgprLocalReadAddrB] offset:23104 // L -> Reg lro=6144 swapByteOffset=16384 ti=32 vIdx=2 rIdx=2 oIdx=0 buffer=1 iui=0
_ds_load_u8_d16_hi v93, v[vgprLocalReadAddrB] offset:23360 // L -> Reg lro=6144 swapByteOffset=16384 ti=32 vIdx=2 rIdx=3 oIdx=0 buffer=1 iui=0
_ds_load_u8 v[vgprValuB_X1_I0+3], v[vgprLocalReadAddrB] offset:22624 // L -> Reg lro=6144 swapByteOffset=16384 ti=32 vIdx=3 rIdx=0 oIdx=0 buffer=1 iui=0
_ds_load_u8 v94, v[vgprLocalReadAddrB] offset:22880 // L -> Reg lro=6144 swapByteOffset=16384 ti=32 vIdx=3 rIdx=1 oIdx=0 buffer=1 iui=0
_ds_load_u8_d16_hi v95, v[vgprLocalReadAddrB] offset:23136 // L -> Reg lro=6144 swapByteOffset=16384 ti=32 vIdx=3 rIdx=2 oIdx=0 buffer=1 iui=0
_ds_load_u8_d16_hi v96, v[vgprLocalReadAddrB] offset:23392 // L -> Reg lro=6144 swapByteOffset=16384 ti=32 vIdx=3 rIdx=3 oIdx=0 buffer=1 iui=0
/* pack scheduling: packAIdx:6, packBIdx:6 */
_v_lshl_or_b32 v[vgprValuB_X0_I0+5], v70, 0x8, v[vgprValuB_X0_I0+5] // pack two int8 Vgpr to one half Vgpr
_v_lshl_or_b32 v71, v72, 0x8, v71                  // pack two int8 Vgpr to one half Vgpr
v_or_b32 v[vgprValuB_X0_I0+5], v[vgprValuB_X0_I0+5], v71 // pack two half Vgpr to one Vgpr
_v_lshl_or_b32 v[vgprValuB_X0_I0+6], v73, 0x8, v[vgprValuB_X0_I0+6] // pack two int8 Vgpr to one half Vgpr
_v_lshl_or_b32 v74, v75, 0x8, v74                  // pack two int8 Vgpr to one half Vgpr
v_or_b32 v[vgprValuB_X0_I0+6], v[vgprValuB_X0_I0+6], v74 // pack two half Vgpr to one Vgpr
v_mfma_i32_32x32x8i8 a[32+0:47+0], v[vgprValuA_X0_I0+0+0+0], v[vgprValuB_X0_I0+1+0+0], a[32:47]
/*  mfmaIndex:36  */
_ds_load_u8 v[vgprValuB_X1_I0+4], v[vgprLocalReadAddrB] offset:22656 // L -> Reg lro=6144 swapByteOffset=16384 ti=32 vIdx=4 rIdx=0 oIdx=0 buffer=1 iui=0
_ds_load_u8 v97, v[vgprLocalReadAddrB] offset:22912 // L -> Reg lro=6144 swapByteOffset=16384 ti=32 vIdx=4 rIdx=1 oIdx=0 buffer=1 iui=0
_ds_load_u8_d16_hi v98, v[vgprLocalReadAddrB] offset:23168 // L -> Reg lro=6144 swapByteOffset=16384 ti=32 vIdx=4 rIdx=2 oIdx=0 buffer=1 iui=0
_ds_load_u8_d16_hi v99, v[vgprLocalReadAddrB] offset:23424 // L -> Reg lro=6144 swapByteOffset=16384 ti=32 vIdx=4 rIdx=3 oIdx=0 buffer=1 iui=0
_ds_load_u8 v[vgprValuB_X1_I0+5], v[vgprLocalReadAddrB] offset:22688 // L -> Reg lro=6144 swapByteOffset=16384 ti=32 vIdx=5 rIdx=0 oIdx=0 buffer=1 iui=0
_ds_load_u8 v100, v[vgprLocalReadAddrB] offset:22944 // L -> Reg lro=6144 swapByteOffset=16384 ti=32 vIdx=5 rIdx=1 oIdx=0 buffer=1 iui=0
/* pack scheduling: packAIdx:6, packBIdx:9 */
_v_lshl_or_b32 v[vgprValuB_X0_I0+7], v76, 0x8, v[vgprValuB_X0_I0+7] // pack two int8 Vgpr to one half Vgpr
_v_lshl_or_b32 v77, v78, 0x8, v77                  // pack two int8 Vgpr to one half Vgpr
v_or_b32 v[vgprValuB_X0_I0+7], v[vgprValuB_X0_I0+7], v77 // pack two half Vgpr to one Vgpr
v_mfma_i32_32x32x8i8 a[64+0:79+0], v[vgprValuA_X0_I0+0+0+0], v[vgprValuB_X0_I0+2+0+0], a[64:79]
/*  mfmaIndex:37  */
_ds_load_u8_d16_hi v101, v[vgprLocalReadAddrB] offset:23200 // L -> Reg lro=6144 swapByteOffset=16384 ti=32 vIdx=5 rIdx=2 oIdx=0 buffer=1 iui=0
_ds_load_u8_d16_hi v102, v[vgprLocalReadAddrB] offset:23456 // L -> Reg lro=6144 swapByteOffset=16384 ti=32 vIdx=5 rIdx=3 oIdx=0 buffer=1 iui=0
_ds_load_u8 v[vgprValuB_X1_I0+6], v[vgprLocalReadAddrB] offset:22720 // L -> Reg lro=6144 swapByteOffset=16384 ti=32 vIdx=6 rIdx=0 oIdx=0 buffer=1 iui=0
_ds_load_u8 v103, v[vgprLocalReadAddrB] offset:22976 // L -> Reg lro=6144 swapByteOffset=16384 ti=32 vIdx=6 rIdx=1 oIdx=0 buffer=1 iui=0
_ds_load_u8_d16_hi v104, v[vgprLocalReadAddrB] offset:23232 // L -> Reg lro=6144 swapByteOffset=16384 ti=32 vIdx=6 rIdx=2 oIdx=0 buffer=1 iui=0
_ds_load_u8_d16_hi v105, v[vgprLocalReadAddrB] offset:23488 // L -> Reg lro=6144 swapByteOffset=16384 ti=32 vIdx=6 rIdx=3 oIdx=0 buffer=1 iui=0
v_mfma_i32_32x32x8i8 a[80+0:95+0], v[vgprValuA_X0_I0+1+0+0], v[vgprValuB_X0_I0+2+0+0], a[80:95]
/*  mfmaIndex:38  */
_ds_load_u8 v[vgprValuB_X1_I0+7], v[vgprLocalReadAddrB] offset:22752 // L -> Reg lro=6144 swapByteOffset=16384 ti=32 vIdx=7 rIdx=0 oIdx=0 buffer=1 iui=0
_ds_load_u8 v106, v[vgprLocalReadAddrB] offset:23008 // L -> Reg lro=6144 swapByteOffset=16384 ti=32 vIdx=7 rIdx=1 oIdx=0 buffer=1 iui=0
_ds_load_u8_d16_hi v107, v[vgprLocalReadAddrB] offset:23264 // L -> Reg lro=6144 swapByteOffset=16384 ti=32 vIdx=7 rIdx=2 oIdx=0 buffer=1 iui=0
_ds_load_u8_d16_hi v108, v[vgprLocalReadAddrB] offset:23520 // L -> Reg lro=6144 swapByteOffset=16384 ti=32 vIdx=7 rIdx=3 oIdx=0 buffer=1 iui=0
/* localReadsVacancy: latencyLeft 5 */
v_mfma_i32_32x32x8i8 a[112+0:127+0], v[vgprValuA_X0_I0+1+0+0], v[vgprValuB_X0_I0+3+0+0], a[112:127]
/*  mfmaIndex:39  */
/* localReadsVacancy: latencyLeft 13 */
v_mfma_i32_32x32x8i8 a[96+0:111+0], v[vgprValuA_X0_I0+0+0+0], v[vgprValuB_X0_I0+3+0+0], a[96:111]
/*  mfmaIndex:40  */
	;; [unrolled: 3-line block ×9, first 2 shown]
/* localReadsVacancy: latencyLeft 7 */
/* sched write - iter 2 writesPerItem=1 */
s_waitcnt vmcnt(0)                                 // lgkmcnt=-1 vmcnt=0wait for global read before writing to local
_ds_store_b64 v[vgprLocalWriteAddrA], v[vgprG2LA+0:vgprG2LA+0+1] offset:0 // lwoA_0_0_0_0 = (0*LSCA) + (0*LSPA)(*MT0I+PAD) = 0

/* local read swap offsets a */

/* local read swap internal offset -> 0 */

/* local read swap offsets b */

/* local read swap internal offset -> 0 */

/* local read init pointers a */

/* localReadInitPointers */

/* local read init pointers b */

/* localReadInitPointers */
v_mfma_i32_32x32x8i8 a[224+0:239+0], v[vgprValuA_X0_I0+0+0+0], v[vgprValuB_X0_I0+7+0+0], a[224:239]
/* numPrefetchIter=0 */
/* dataAtIterA=1 numReadsIterA=3 skipReadsIterA=1 readsPerIterA=8 */
/* dataAtIterB=1 numReadsIterB=3 skipReadsIterB=1 readsPerIterB=32 */


/* iter 3 (swap and reset local write pointers iteration)  */

/*  grEndMfmaIndex:7, lwStartMfmaIndex:47, lwEndMfmaIndex:54  */
/*  numMfmaForLR:7, barrierMfmaIndex:56 */
/*  mfmaIndex:48  */
/* sched write - iter 3 writesPerItem=1 */
s_waitcnt vmcnt(0)                                 // lgkmcnt=-1 vmcnt=0wait for global read before writing to local
_ds_store_b64 v[vgprLocalWriteAddrA], v[vgprG2LA+2:vgprG2LA+2+1] offset:512 // lwoA_0_0_1_0 = (0*LSCA) + (1*LSPA)(*MT0I+PAD) = 512
s_waitcnt lgkmcnt(2)                               // lgkmcnt=0 vmcnt=-1wait for prior local read local write old=0, new=2 newLW=2 newLR=0
/* pack scheduling: packAIdx:3, packBIdx:3 */
_v_lshl_or_b32 v[vgprValuA_X1_I0+0], v79, 0x8, v[vgprValuA_X1_I0+0] // pack two int8 Vgpr to one half Vgpr
_v_lshl_or_b32 v80, v81, 0x8, v80                  // pack two int8 Vgpr to one half Vgpr
v_or_b32 v[vgprValuA_X1_I0+0], v[vgprValuA_X1_I0+0], v80 // pack two half Vgpr to one Vgpr
_v_lshl_or_b32 v[vgprValuB_X1_I0+0], v85, 0x8, v[vgprValuB_X1_I0+0] // pack two int8 Vgpr to one half Vgpr
_v_lshl_or_b32 v86, v87, 0x8, v86                  // pack two int8 Vgpr to one half Vgpr
v_or_b32 v[vgprValuB_X1_I0+0], v[vgprValuB_X1_I0+0], v86 // pack two half Vgpr to one Vgpr
_v_lshl_or_b32 v[vgprValuA_X1_I0+1], v82, 0x8, v[vgprValuA_X1_I0+1] // pack two int8 Vgpr to one half Vgpr
_v_lshl_or_b32 v83, v84, 0x8, v83                  // pack two int8 Vgpr to one half Vgpr
v_or_b32 v[vgprValuA_X1_I0+1], v[vgprValuA_X1_I0+1], v83 // pack two half Vgpr to one Vgpr
v_mfma_i32_32x32x8i8 a[0+0:15+0], v[vgprValuA_X1_I0+0+0+0], v[vgprValuB_X1_I0+0+0+0], a[0:15]
/*  mfmaIndex:49  */
/* sched write - iter 3 writesPerItem=1 */
s_waitcnt vmcnt(0)                                 // lgkmcnt=-1 vmcnt=0wait for global read before writing to local
_ds_store_b64 v[vgprLocalWriteAddrA], v[vgprG2LA+4:vgprG2LA+4+1] offset:1024 // lwoA_0_0_2_0 = (0*LSCA) + (2*LSPA)(*MT0I+PAD) = 1024
/* pack scheduling: packAIdx:6, packBIdx:3 */
_v_lshl_or_b32 v[vgprValuB_X1_I0+1], v88, 0x8, v[vgprValuB_X1_I0+1] // pack two int8 Vgpr to one half Vgpr
_v_lshl_or_b32 v89, v90, 0x8, v89                  // pack two int8 Vgpr to one half Vgpr
v_or_b32 v[vgprValuB_X1_I0+1], v[vgprValuB_X1_I0+1], v89 // pack two half Vgpr to one Vgpr
_v_lshl_or_b32 v[vgprValuB_X1_I0+2], v91, 0x8, v[vgprValuB_X1_I0+2] // pack two int8 Vgpr to one half Vgpr
_v_lshl_or_b32 v92, v93, 0x8, v92                  // pack two int8 Vgpr to one half Vgpr
v_or_b32 v[vgprValuB_X1_I0+2], v[vgprValuB_X1_I0+2], v92 // pack two half Vgpr to one Vgpr
v_mfma_i32_32x32x8i8 a[16+0:31+0], v[vgprValuA_X1_I0+1+0+0], v[vgprValuB_X1_I0+0+0+0], a[16:31]
/*  mfmaIndex:50  */
/* sched write - iter 3 writesPerItem=1 */
s_waitcnt vmcnt(0)                                 // lgkmcnt=-1 vmcnt=0wait for global read before writing to local
_ds_store_b64 v[vgprLocalWriteAddrA], v[vgprG2LA+6:vgprG2LA+6+1] offset:1536 // lwoA_0_0_3_0 = (0*LSCA) + (3*LSPA)(*MT0I+PAD) = 1536
/* pack scheduling: packAIdx:6, packBIdx:6 */
_v_lshl_or_b32 v[vgprValuB_X1_I0+3], v94, 0x8, v[vgprValuB_X1_I0+3] // pack two int8 Vgpr to one half Vgpr
_v_lshl_or_b32 v95, v96, 0x8, v95                  // pack two int8 Vgpr to one half Vgpr
v_or_b32 v[vgprValuB_X1_I0+3], v[vgprValuB_X1_I0+3], v95 // pack two half Vgpr to one Vgpr
_v_lshl_or_b32 v[vgprValuB_X1_I0+4], v97, 0x8, v[vgprValuB_X1_I0+4] // pack two int8 Vgpr to one half Vgpr
_v_lshl_or_b32 v98, v99, 0x8, v98                  // pack two int8 Vgpr to one half Vgpr
v_or_b32 v[vgprValuB_X1_I0+4], v[vgprValuB_X1_I0+4], v98 // pack two half Vgpr to one Vgpr
v_mfma_i32_32x32x8i8 a[48+0:63+0], v[vgprValuA_X1_I0+1+0+0], v[vgprValuB_X1_I0+1+0+0], a[48:63]
/*  mfmaIndex:51  */
/* sched write - iter 3 writesPerItem=1 */
s_waitcnt vmcnt(0)                                 // lgkmcnt=-1 vmcnt=0wait for global read before writing to local
_ds_store_b64 v[vgprLocalWriteAddrB], v[vgprG2LB+0:vgprG2LB+0+1] offset:0 // lwoB_0_0_0_0 = (0*LSCB) + (0*LSPB)(*MT1J+PAD) = 0
/* pack scheduling: packAIdx:6, packBIdx:6 */
_v_lshl_or_b32 v[vgprValuB_X1_I0+5], v100, 0x8, v[vgprValuB_X1_I0+5] // pack two int8 Vgpr to one half Vgpr
_v_lshl_or_b32 v101, v102, 0x8, v101               // pack two int8 Vgpr to one half Vgpr
v_or_b32 v[vgprValuB_X1_I0+5], v[vgprValuB_X1_I0+5], v101 // pack two half Vgpr to one Vgpr
_v_lshl_or_b32 v[vgprValuB_X1_I0+6], v103, 0x8, v[vgprValuB_X1_I0+6] // pack two int8 Vgpr to one half Vgpr
_v_lshl_or_b32 v104, v105, 0x8, v104               // pack two int8 Vgpr to one half Vgpr
v_or_b32 v[vgprValuB_X1_I0+6], v[vgprValuB_X1_I0+6], v104 // pack two half Vgpr to one Vgpr
v_mfma_i32_32x32x8i8 a[32+0:47+0], v[vgprValuA_X1_I0+0+0+0], v[vgprValuB_X1_I0+1+0+0], a[32:47]
/*  mfmaIndex:52  */
/* sched write - iter 3 writesPerItem=1 */
s_waitcnt vmcnt(0)                                 // lgkmcnt=-1 vmcnt=0wait for global read before writing to local
_ds_store_b64 v[vgprLocalWriteAddrB], v[vgprG2LB+2:vgprG2LB+2+1] offset:512 // lwoB_0_0_1_0 = (0*LSCB) + (1*LSPB)(*MT1J+PAD) = 512
/* pack scheduling: packAIdx:6, packBIdx:9 */
_v_lshl_or_b32 v[vgprValuB_X1_I0+7], v106, 0x8, v[vgprValuB_X1_I0+7] // pack two int8 Vgpr to one half Vgpr
_v_lshl_or_b32 v107, v108, 0x8, v107               // pack two int8 Vgpr to one half Vgpr
v_or_b32 v[vgprValuB_X1_I0+7], v[vgprValuB_X1_I0+7], v107 // pack two half Vgpr to one Vgpr
v_mfma_i32_32x32x8i8 a[64+0:79+0], v[vgprValuA_X1_I0+0+0+0], v[vgprValuB_X1_I0+2+0+0], a[64:79]
/*  mfmaIndex:53  */
/* sched write - iter 3 writesPerItem=1 */
s_waitcnt vmcnt(0)                                 // lgkmcnt=-1 vmcnt=0wait for global read before writing to local
_ds_store_b64 v[vgprLocalWriteAddrB], v[vgprG2LB+4:vgprG2LB+4+1] offset:1024 // lwoB_0_0_2_0 = (0*LSCB) + (2*LSPB)(*MT1J+PAD) = 1024
v_mfma_i32_32x32x8i8 a[80+0:95+0], v[vgprValuA_X1_I0+1+0+0], v[vgprValuB_X1_I0+2+0+0], a[80:95]
/*  mfmaIndex:54  */
/* sched write - iter 3 writesPerItem=1 */
s_waitcnt vmcnt(0)                                 // lgkmcnt=-1 vmcnt=0wait for global read before writing to local
_ds_store_b64 v[vgprLocalWriteAddrB], v[vgprG2LB+6:vgprG2LB+6+1] offset:1536 // lwoB_0_0_3_0 = (0*LSCB) + (3*LSPB)(*MT1J+PAD) = 1536

/* local write swap offsets a */

/* (EPS=1) local write swap internal offset -> 16384 */

/* local write swap offsets b */

/* (EPS=1) local write swap internal offset -> 16384 */
v_mfma_i32_32x32x8i8 a[112+0:127+0], v[vgprValuA_X1_I0+1+0+0], v[vgprValuB_X1_I0+3+0+0], a[112:127]
/*  mfmaIndex:55  */
v_mfma_i32_32x32x8i8 a[96+0:111+0], v[vgprValuA_X1_I0+0+0+0], v[vgprValuB_X1_I0+3+0+0], a[96:111]
/*  mfmaIndex:56  */
s_waitcnt lgkmcnt(0)                               // lgkmcnt=0 vmcnt=-13wait for local write
s_waitcnt lgkmcnt(0) & vmcnt(0)                    // force waitcnt0
s_barrier //
v_mfma_i32_32x32x8i8 a[128+0:143+0], v[vgprValuA_X1_I0+0+0+0], v[vgprValuB_X1_I0+4+0+0], a[128:143]
/*  mfmaIndex:57  */
_ds_load_u8 v[vgprValuA_X0_I0+0], v[vgprLocalReadAddrA] offset:0 // L -> Reg lro=0 swapByteOffset=0 ti=128 vIdx=0 rIdx=0 oIdx=0 buffer=0 iui=0
_ds_load_u8 v49, v[vgprLocalReadAddrA] offset:256  // L -> Reg lro=0 swapByteOffset=0 ti=128 vIdx=0 rIdx=1 oIdx=0 buffer=0 iui=0
_ds_load_u8_d16_hi v50, v[vgprLocalReadAddrA] offset:512 // L -> Reg lro=0 swapByteOffset=0 ti=128 vIdx=0 rIdx=2 oIdx=0 buffer=0 iui=0
_ds_load_u8_d16_hi v51, v[vgprLocalReadAddrA] offset:768 // L -> Reg lro=0 swapByteOffset=0 ti=128 vIdx=0 rIdx=3 oIdx=0 buffer=0 iui=0
_ds_load_u8 v[vgprValuB_X0_I0+0], v[vgprLocalReadAddrB] offset:0 // L -> Reg lro=0 swapByteOffset=0 ti=32 vIdx=0 rIdx=0 oIdx=0 buffer=0 iui=0
_ds_load_u8 v55, v[vgprLocalReadAddrB] offset:256  // L -> Reg lro=0 swapByteOffset=0 ti=32 vIdx=0 rIdx=1 oIdx=0 buffer=0 iui=0
v_mfma_i32_32x32x8i8 a[144+0:159+0], v[vgprValuA_X1_I0+1+0+0], v[vgprValuB_X1_I0+4+0+0], a[144:159]
/*  mfmaIndex:58  */
_ds_load_u8_d16_hi v56, v[vgprLocalReadAddrB] offset:512 // L -> Reg lro=0 swapByteOffset=0 ti=32 vIdx=0 rIdx=2 oIdx=0 buffer=0 iui=0
_ds_load_u8_d16_hi v57, v[vgprLocalReadAddrB] offset:768 // L -> Reg lro=0 swapByteOffset=0 ti=32 vIdx=0 rIdx=3 oIdx=0 buffer=0 iui=0
_ds_load_u8 v[vgprValuA_X0_I0+1], v[vgprLocalReadAddrA] offset:128 // L -> Reg lro=0 swapByteOffset=0 ti=128 vIdx=1 rIdx=0 oIdx=0 buffer=0 iui=0
_ds_load_u8 v52, v[vgprLocalReadAddrA] offset:384  // L -> Reg lro=0 swapByteOffset=0 ti=128 vIdx=1 rIdx=1 oIdx=0 buffer=0 iui=0
_ds_load_u8_d16_hi v53, v[vgprLocalReadAddrA] offset:640 // L -> Reg lro=0 swapByteOffset=0 ti=128 vIdx=1 rIdx=2 oIdx=0 buffer=0 iui=0
_ds_load_u8_d16_hi v54, v[vgprLocalReadAddrA] offset:896 // L -> Reg lro=0 swapByteOffset=0 ti=128 vIdx=1 rIdx=3 oIdx=0 buffer=0 iui=0
v_mfma_i32_32x32x8i8 a[176+0:191+0], v[vgprValuA_X1_I0+1+0+0], v[vgprValuB_X1_I0+5+0+0], a[176:191]
/*  mfmaIndex:59  */
_ds_load_u8 v[vgprValuB_X0_I0+1], v[vgprLocalReadAddrB] offset:32 // L -> Reg lro=0 swapByteOffset=0 ti=32 vIdx=1 rIdx=0 oIdx=0 buffer=0 iui=0
_ds_load_u8 v58, v[vgprLocalReadAddrB] offset:288  // L -> Reg lro=0 swapByteOffset=0 ti=32 vIdx=1 rIdx=1 oIdx=0 buffer=0 iui=0
_ds_load_u8_d16_hi v59, v[vgprLocalReadAddrB] offset:544 // L -> Reg lro=0 swapByteOffset=0 ti=32 vIdx=1 rIdx=2 oIdx=0 buffer=0 iui=0
_ds_load_u8_d16_hi v60, v[vgprLocalReadAddrB] offset:800 // L -> Reg lro=0 swapByteOffset=0 ti=32 vIdx=1 rIdx=3 oIdx=0 buffer=0 iui=0
_ds_load_u8 v[vgprValuB_X0_I0+2], v[vgprLocalReadAddrB] offset:64 // L -> Reg lro=0 swapByteOffset=0 ti=32 vIdx=2 rIdx=0 oIdx=0 buffer=0 iui=0
_ds_load_u8 v61, v[vgprLocalReadAddrB] offset:320  // L -> Reg lro=0 swapByteOffset=0 ti=32 vIdx=2 rIdx=1 oIdx=0 buffer=0 iui=0
v_mfma_i32_32x32x8i8 a[160+0:175+0], v[vgprValuA_X1_I0+0+0+0], v[vgprValuB_X1_I0+5+0+0], a[160:175]
/*  mfmaIndex:60  */
_ds_load_u8_d16_hi v62, v[vgprLocalReadAddrB] offset:576 // L -> Reg lro=0 swapByteOffset=0 ti=32 vIdx=2 rIdx=2 oIdx=0 buffer=0 iui=0
_ds_load_u8_d16_hi v63, v[vgprLocalReadAddrB] offset:832 // L -> Reg lro=0 swapByteOffset=0 ti=32 vIdx=2 rIdx=3 oIdx=0 buffer=0 iui=0
_ds_load_u8 v[vgprValuB_X0_I0+3], v[vgprLocalReadAddrB] offset:96 // L -> Reg lro=0 swapByteOffset=0 ti=32 vIdx=3 rIdx=0 oIdx=0 buffer=0 iui=0
_ds_load_u8 v64, v[vgprLocalReadAddrB] offset:352  // L -> Reg lro=0 swapByteOffset=0 ti=32 vIdx=3 rIdx=1 oIdx=0 buffer=0 iui=0
_ds_load_u8_d16_hi v65, v[vgprLocalReadAddrB] offset:608 // L -> Reg lro=0 swapByteOffset=0 ti=32 vIdx=3 rIdx=2 oIdx=0 buffer=0 iui=0
_ds_load_u8_d16_hi v66, v[vgprLocalReadAddrB] offset:864 // L -> Reg lro=0 swapByteOffset=0 ti=32 vIdx=3 rIdx=3 oIdx=0 buffer=0 iui=0
v_mfma_i32_32x32x8i8 a[192+0:207+0], v[vgprValuA_X1_I0+0+0+0], v[vgprValuB_X1_I0+6+0+0], a[192:207]
/*  mfmaIndex:61  */
_ds_load_u8 v[vgprValuB_X0_I0+4], v[vgprLocalReadAddrB] offset:128 // L -> Reg lro=0 swapByteOffset=0 ti=32 vIdx=4 rIdx=0 oIdx=0 buffer=0 iui=0
_ds_load_u8 v67, v[vgprLocalReadAddrB] offset:384  // L -> Reg lro=0 swapByteOffset=0 ti=32 vIdx=4 rIdx=1 oIdx=0 buffer=0 iui=0
_ds_load_u8_d16_hi v68, v[vgprLocalReadAddrB] offset:640 // L -> Reg lro=0 swapByteOffset=0 ti=32 vIdx=4 rIdx=2 oIdx=0 buffer=0 iui=0
_ds_load_u8_d16_hi v69, v[vgprLocalReadAddrB] offset:896 // L -> Reg lro=0 swapByteOffset=0 ti=32 vIdx=4 rIdx=3 oIdx=0 buffer=0 iui=0
_ds_load_u8 v[vgprValuB_X0_I0+5], v[vgprLocalReadAddrB] offset:160 // L -> Reg lro=0 swapByteOffset=0 ti=32 vIdx=5 rIdx=0 oIdx=0 buffer=0 iui=0
_ds_load_u8 v70, v[vgprLocalReadAddrB] offset:416  // L -> Reg lro=0 swapByteOffset=0 ti=32 vIdx=5 rIdx=1 oIdx=0 buffer=0 iui=0
v_mfma_i32_32x32x8i8 a[208+0:223+0], v[vgprValuA_X1_I0+1+0+0], v[vgprValuB_X1_I0+6+0+0], a[208:223]
/*  mfmaIndex:62  */
_ds_load_u8_d16_hi v71, v[vgprLocalReadAddrB] offset:672 // L -> Reg lro=0 swapByteOffset=0 ti=32 vIdx=5 rIdx=2 oIdx=0 buffer=0 iui=0
_ds_load_u8_d16_hi v72, v[vgprLocalReadAddrB] offset:928 // L -> Reg lro=0 swapByteOffset=0 ti=32 vIdx=5 rIdx=3 oIdx=0 buffer=0 iui=0
_ds_load_u8 v[vgprValuB_X0_I0+6], v[vgprLocalReadAddrB] offset:192 // L -> Reg lro=0 swapByteOffset=0 ti=32 vIdx=6 rIdx=0 oIdx=0 buffer=0 iui=0
_ds_load_u8 v73, v[vgprLocalReadAddrB] offset:448  // L -> Reg lro=0 swapByteOffset=0 ti=32 vIdx=6 rIdx=1 oIdx=0 buffer=0 iui=0
_ds_load_u8_d16_hi v74, v[vgprLocalReadAddrB] offset:704 // L -> Reg lro=0 swapByteOffset=0 ti=32 vIdx=6 rIdx=2 oIdx=0 buffer=0 iui=0
_ds_load_u8_d16_hi v75, v[vgprLocalReadAddrB] offset:960 // L -> Reg lro=0 swapByteOffset=0 ti=32 vIdx=6 rIdx=3 oIdx=0 buffer=0 iui=0
v_mfma_i32_32x32x8i8 a[240+0:255+0], v[vgprValuA_X1_I0+1+0+0], v[vgprValuB_X1_I0+7+0+0], a[240:255]
/*  mfmaIndex:63  */
_ds_load_u8 v[vgprValuB_X0_I0+7], v[vgprLocalReadAddrB] offset:224 // L -> Reg lro=0 swapByteOffset=0 ti=32 vIdx=7 rIdx=0 oIdx=0 buffer=0 iui=0
_ds_load_u8 v76, v[vgprLocalReadAddrB] offset:480  // L -> Reg lro=0 swapByteOffset=0 ti=32 vIdx=7 rIdx=1 oIdx=0 buffer=0 iui=0
_ds_load_u8_d16_hi v77, v[vgprLocalReadAddrB] offset:736 // L -> Reg lro=0 swapByteOffset=0 ti=32 vIdx=7 rIdx=2 oIdx=0 buffer=0 iui=0
_ds_load_u8_d16_hi v78, v[vgprLocalReadAddrB] offset:992 // L -> Reg lro=0 swapByteOffset=0 ti=32 vIdx=7 rIdx=3 oIdx=0 buffer=0 iui=0
v_mfma_i32_32x32x8i8 a[224+0:239+0], v[vgprValuA_X1_I0+0+0+0], v[vgprValuB_X1_I0+7+0+0], a[224:239]
/* numPrefetchIter=1 */
/* dataAtIterA=2 numReadsIterA=3 skipReadsIterA=1 readsPerIterA=8 */
/* dataAtIterB=2 numReadsIterB=3 skipReadsIterB=1 readsPerIterB=32 */


/******************************************/
/* Unrolled Loop - End 2/2 (final)        */
/******************************************/


/* closeLoop loopL finalLoop=1 tailLoop=0 */
s_sub_u32 s[sgprLoopCounterL], s[sgprLoopCounterL], 1 // dec counterL
s_cmp_eq_i32 s[sgprLoopCounterL], 0x1              // counterL==1
s_cbranch_scc0 LoopBeginL_1                        // restart LoopL
LoopEndL_evenexit_4: // unroll loop eveniter exit
s_branch LoopEndL_2                                // exit unroll loopL (and skip second exit code)
LoopEndL_oddexit_3: // unroll loop odditer exit

/* Select high bank of LDS */
v_xor_b32 v[vgprLocalReadAddrA], 0x4000, v[vgprLocalReadAddrA] // swap Red Blk
v_xor_b32 v[vgprLocalReadAddrB], 0x4000, v[vgprLocalReadAddrB] // swap Red Blk
LoopEndL_2:


/* Before NLL: Check VGPR.checkin for INT8 LW */


/******************************************/
/* Opt. NoLoadLoop Without PAP - Begin                                      */
/******************************************/

s_cmpk_eq_u32 s[sgprBeta], 0x0                     // Beta == 0
s_cbranch_scc0 OptNLL_End_15                       // Branch if Beta is not zero

s_cmp_eq_u32 s[sgprAlpha], 1                       // Alpha == 1.0 ?
s_cbranch_scc0 OptNLL_End_15                       // branch if alpha != 1

s_and_b32 s32, 255, s[sgprSizeI]                   // s32 = s[sgprSizeI] % 256
s_add_u32 s33, -0x1, s[sgprNumWorkGroups0]         // 
s_cmp_ge_u32 s[sgprWorkGroup0], s33                // wg0 >= nwg0-1 ?
s_cselect_b32 s32, s32, 0                          // set rMT0
s_cmpk_gt_u32 s32, 0x0                             // rMT0 > 0
s_cbranch_scc1 OptNLL_End_15                       // jump if edges required
s_and_b32 s32, 255, s[sgprSizeJ]                   // s32 = s[sgprSizeJ] % 256
s_add_u32 s33, -0x1, s[sgprNumWorkGroups1]         // 
s_cmp_ge_u32 s[sgprWorkGroup1], s33                // wg1 >= nwg1-1
s_cselect_b32 s32, s32, 0                          // set rMT1
s_cmpk_gt_u32 s32, 0x0                             // rMT1 > 0
s_cbranch_scc1 OptNLL_End_15                       // jump if edges required

s_and_b32 s33, 31, s[sgprSizesSum+0]               // s33 = s[sgprSizesSum+0] % 32
s_cmp_eq_u32 s33, 0x0                              // numIterL == 0
s_cbranch_scc0 OptNLL_End_15                       // skip if tail loop required



/* iter 0 (last unrolled loop) */

/*  grEndMfmaIndex:0, lwStartMfmaIndex:54, lwEndMfmaIndex:54  */
/*  numMfmaForLR:7, barrierMfmaIndex:56 */
/*  mfmaIndex:0  */
s_waitcnt lgkmcnt(0)                               // lgkmcnt=0 vmcnt=-1wait for prior local read local write old=0, new=0 newLW=0 newLR=0
/* pack scheduling: packAIdx:3, packBIdx:3 */
_v_lshl_or_b32 v[vgprValuA_X0_I0+0], v49, 0x8, v[vgprValuA_X0_I0+0] // pack two int8 Vgpr to one half Vgpr
_v_lshl_or_b32 v50, v51, 0x8, v50                  // pack two int8 Vgpr to one half Vgpr
v_or_b32 v[vgprValuA_X0_I0+0], v[vgprValuA_X0_I0+0], v50 // pack two half Vgpr to one Vgpr
_v_lshl_or_b32 v[vgprValuB_X0_I0+0], v55, 0x8, v[vgprValuB_X0_I0+0] // pack two int8 Vgpr to one half Vgpr
_v_lshl_or_b32 v56, v57, 0x8, v56                  // pack two int8 Vgpr to one half Vgpr
v_or_b32 v[vgprValuB_X0_I0+0], v[vgprValuB_X0_I0+0], v56 // pack two half Vgpr to one Vgpr
_v_lshl_or_b32 v[vgprValuA_X0_I0+1], v52, 0x8, v[vgprValuA_X0_I0+1] // pack two int8 Vgpr to one half Vgpr
_v_lshl_or_b32 v53, v54, 0x8, v53                  // pack two int8 Vgpr to one half Vgpr
v_or_b32 v[vgprValuA_X0_I0+1], v[vgprValuA_X0_I0+1], v53 // pack two half Vgpr to one Vgpr
v_mfma_i32_32x32x8i8 a[0+0:15+0], v[vgprValuA_X0_I0+0+0+0], v[vgprValuB_X0_I0+0+0+0], a[0:15]
/*  mfmaIndex:1  */
_ds_load_u8 v[vgprValuA_X1_I0+0], v[vgprLocalReadAddrA] offset:2048 // L -> Reg lro=2048 swapByteOffset=0 ti=128 vIdx=0 rIdx=0 oIdx=0 buffer=1 iui=0
_ds_load_u8 v79, v[vgprLocalReadAddrA] offset:2304 // L -> Reg lro=2048 swapByteOffset=0 ti=128 vIdx=0 rIdx=1 oIdx=0 buffer=1 iui=0
_ds_load_u8_d16_hi v80, v[vgprLocalReadAddrA] offset:2560 // L -> Reg lro=2048 swapByteOffset=0 ti=128 vIdx=0 rIdx=2 oIdx=0 buffer=1 iui=0
_ds_load_u8_d16_hi v81, v[vgprLocalReadAddrA] offset:2816 // L -> Reg lro=2048 swapByteOffset=0 ti=128 vIdx=0 rIdx=3 oIdx=0 buffer=1 iui=0
_ds_load_u8 v[vgprValuB_X1_I0+0], v[vgprLocalReadAddrB] offset:2048 // L -> Reg lro=2048 swapByteOffset=0 ti=32 vIdx=0 rIdx=0 oIdx=0 buffer=1 iui=0
_ds_load_u8 v85, v[vgprLocalReadAddrB] offset:2304 // L -> Reg lro=2048 swapByteOffset=0 ti=32 vIdx=0 rIdx=1 oIdx=0 buffer=1 iui=0
/* pack scheduling: packAIdx:6, packBIdx:3 */
_v_lshl_or_b32 v[vgprValuB_X0_I0+1], v58, 0x8, v[vgprValuB_X0_I0+1] // pack two int8 Vgpr to one half Vgpr
_v_lshl_or_b32 v59, v60, 0x8, v59                  // pack two int8 Vgpr to one half Vgpr
v_or_b32 v[vgprValuB_X0_I0+1], v[vgprValuB_X0_I0+1], v59 // pack two half Vgpr to one Vgpr
_v_lshl_or_b32 v[vgprValuB_X0_I0+2], v61, 0x8, v[vgprValuB_X0_I0+2] // pack two int8 Vgpr to one half Vgpr
_v_lshl_or_b32 v62, v63, 0x8, v62                  // pack two int8 Vgpr to one half Vgpr
v_or_b32 v[vgprValuB_X0_I0+2], v[vgprValuB_X0_I0+2], v62 // pack two half Vgpr to one Vgpr
v_mfma_i32_32x32x8i8 a[16+0:31+0], v[vgprValuA_X0_I0+1+0+0], v[vgprValuB_X0_I0+0+0+0], a[16:31]
/*  mfmaIndex:2  */
_ds_load_u8_d16_hi v86, v[vgprLocalReadAddrB] offset:2560 // L -> Reg lro=2048 swapByteOffset=0 ti=32 vIdx=0 rIdx=2 oIdx=0 buffer=1 iui=0
_ds_load_u8_d16_hi v87, v[vgprLocalReadAddrB] offset:2816 // L -> Reg lro=2048 swapByteOffset=0 ti=32 vIdx=0 rIdx=3 oIdx=0 buffer=1 iui=0
_ds_load_u8 v[vgprValuA_X1_I0+1], v[vgprLocalReadAddrA] offset:2176 // L -> Reg lro=2048 swapByteOffset=0 ti=128 vIdx=1 rIdx=0 oIdx=0 buffer=1 iui=0
_ds_load_u8 v82, v[vgprLocalReadAddrA] offset:2432 // L -> Reg lro=2048 swapByteOffset=0 ti=128 vIdx=1 rIdx=1 oIdx=0 buffer=1 iui=0
_ds_load_u8_d16_hi v83, v[vgprLocalReadAddrA] offset:2688 // L -> Reg lro=2048 swapByteOffset=0 ti=128 vIdx=1 rIdx=2 oIdx=0 buffer=1 iui=0
_ds_load_u8_d16_hi v84, v[vgprLocalReadAddrA] offset:2944 // L -> Reg lro=2048 swapByteOffset=0 ti=128 vIdx=1 rIdx=3 oIdx=0 buffer=1 iui=0
/* pack scheduling: packAIdx:6, packBIdx:6 */
_v_lshl_or_b32 v[vgprValuB_X0_I0+3], v64, 0x8, v[vgprValuB_X0_I0+3] // pack two int8 Vgpr to one half Vgpr
_v_lshl_or_b32 v65, v66, 0x8, v65                  // pack two int8 Vgpr to one half Vgpr
v_or_b32 v[vgprValuB_X0_I0+3], v[vgprValuB_X0_I0+3], v65 // pack two half Vgpr to one Vgpr
_v_lshl_or_b32 v[vgprValuB_X0_I0+4], v67, 0x8, v[vgprValuB_X0_I0+4] // pack two int8 Vgpr to one half Vgpr
_v_lshl_or_b32 v68, v69, 0x8, v68                  // pack two int8 Vgpr to one half Vgpr
v_or_b32 v[vgprValuB_X0_I0+4], v[vgprValuB_X0_I0+4], v68 // pack two half Vgpr to one Vgpr
v_mfma_i32_32x32x8i8 a[48+0:63+0], v[vgprValuA_X0_I0+1+0+0], v[vgprValuB_X0_I0+1+0+0], a[48:63]
/*  mfmaIndex:3  */
_ds_load_u8 v[vgprValuB_X1_I0+1], v[vgprLocalReadAddrB] offset:2080 // L -> Reg lro=2048 swapByteOffset=0 ti=32 vIdx=1 rIdx=0 oIdx=0 buffer=1 iui=0
_ds_load_u8 v88, v[vgprLocalReadAddrB] offset:2336 // L -> Reg lro=2048 swapByteOffset=0 ti=32 vIdx=1 rIdx=1 oIdx=0 buffer=1 iui=0
_ds_load_u8_d16_hi v89, v[vgprLocalReadAddrB] offset:2592 // L -> Reg lro=2048 swapByteOffset=0 ti=32 vIdx=1 rIdx=2 oIdx=0 buffer=1 iui=0
_ds_load_u8_d16_hi v90, v[vgprLocalReadAddrB] offset:2848 // L -> Reg lro=2048 swapByteOffset=0 ti=32 vIdx=1 rIdx=3 oIdx=0 buffer=1 iui=0
_ds_load_u8 v[vgprValuB_X1_I0+2], v[vgprLocalReadAddrB] offset:2112 // L -> Reg lro=2048 swapByteOffset=0 ti=32 vIdx=2 rIdx=0 oIdx=0 buffer=1 iui=0
_ds_load_u8 v91, v[vgprLocalReadAddrB] offset:2368 // L -> Reg lro=2048 swapByteOffset=0 ti=32 vIdx=2 rIdx=1 oIdx=0 buffer=1 iui=0
/* pack scheduling: packAIdx:6, packBIdx:6 */
_v_lshl_or_b32 v[vgprValuB_X0_I0+5], v70, 0x8, v[vgprValuB_X0_I0+5] // pack two int8 Vgpr to one half Vgpr
_v_lshl_or_b32 v71, v72, 0x8, v71                  // pack two int8 Vgpr to one half Vgpr
v_or_b32 v[vgprValuB_X0_I0+5], v[vgprValuB_X0_I0+5], v71 // pack two half Vgpr to one Vgpr
_v_lshl_or_b32 v[vgprValuB_X0_I0+6], v73, 0x8, v[vgprValuB_X0_I0+6] // pack two int8 Vgpr to one half Vgpr
_v_lshl_or_b32 v74, v75, 0x8, v74                  // pack two int8 Vgpr to one half Vgpr
v_or_b32 v[vgprValuB_X0_I0+6], v[vgprValuB_X0_I0+6], v74 // pack two half Vgpr to one Vgpr
v_mfma_i32_32x32x8i8 a[32+0:47+0], v[vgprValuA_X0_I0+0+0+0], v[vgprValuB_X0_I0+1+0+0], a[32:47]
/*  mfmaIndex:4  */
_ds_load_u8_d16_hi v92, v[vgprLocalReadAddrB] offset:2624 // L -> Reg lro=2048 swapByteOffset=0 ti=32 vIdx=2 rIdx=2 oIdx=0 buffer=1 iui=0
_ds_load_u8_d16_hi v93, v[vgprLocalReadAddrB] offset:2880 // L -> Reg lro=2048 swapByteOffset=0 ti=32 vIdx=2 rIdx=3 oIdx=0 buffer=1 iui=0
_ds_load_u8 v[vgprValuB_X1_I0+3], v[vgprLocalReadAddrB] offset:2144 // L -> Reg lro=2048 swapByteOffset=0 ti=32 vIdx=3 rIdx=0 oIdx=0 buffer=1 iui=0
_ds_load_u8 v94, v[vgprLocalReadAddrB] offset:2400 // L -> Reg lro=2048 swapByteOffset=0 ti=32 vIdx=3 rIdx=1 oIdx=0 buffer=1 iui=0
_ds_load_u8_d16_hi v95, v[vgprLocalReadAddrB] offset:2656 // L -> Reg lro=2048 swapByteOffset=0 ti=32 vIdx=3 rIdx=2 oIdx=0 buffer=1 iui=0
_ds_load_u8_d16_hi v96, v[vgprLocalReadAddrB] offset:2912 // L -> Reg lro=2048 swapByteOffset=0 ti=32 vIdx=3 rIdx=3 oIdx=0 buffer=1 iui=0
/* pack scheduling: packAIdx:6, packBIdx:9 */
_v_lshl_or_b32 v[vgprValuB_X0_I0+7], v76, 0x8, v[vgprValuB_X0_I0+7] // pack two int8 Vgpr to one half Vgpr
_v_lshl_or_b32 v77, v78, 0x8, v77                  // pack two int8 Vgpr to one half Vgpr
v_or_b32 v[vgprValuB_X0_I0+7], v[vgprValuB_X0_I0+7], v77 // pack two half Vgpr to one Vgpr
v_mfma_i32_32x32x8i8 a[64+0:79+0], v[vgprValuA_X0_I0+0+0+0], v[vgprValuB_X0_I0+2+0+0], a[64:79]
/*  mfmaIndex:5  */
_ds_load_u8 v[vgprValuB_X1_I0+4], v[vgprLocalReadAddrB] offset:2176 // L -> Reg lro=2048 swapByteOffset=0 ti=32 vIdx=4 rIdx=0 oIdx=0 buffer=1 iui=0
_ds_load_u8 v97, v[vgprLocalReadAddrB] offset:2432 // L -> Reg lro=2048 swapByteOffset=0 ti=32 vIdx=4 rIdx=1 oIdx=0 buffer=1 iui=0
_ds_load_u8_d16_hi v98, v[vgprLocalReadAddrB] offset:2688 // L -> Reg lro=2048 swapByteOffset=0 ti=32 vIdx=4 rIdx=2 oIdx=0 buffer=1 iui=0
_ds_load_u8_d16_hi v99, v[vgprLocalReadAddrB] offset:2944 // L -> Reg lro=2048 swapByteOffset=0 ti=32 vIdx=4 rIdx=3 oIdx=0 buffer=1 iui=0
_ds_load_u8 v[vgprValuB_X1_I0+5], v[vgprLocalReadAddrB] offset:2208 // L -> Reg lro=2048 swapByteOffset=0 ti=32 vIdx=5 rIdx=0 oIdx=0 buffer=1 iui=0
_ds_load_u8 v100, v[vgprLocalReadAddrB] offset:2464 // L -> Reg lro=2048 swapByteOffset=0 ti=32 vIdx=5 rIdx=1 oIdx=0 buffer=1 iui=0
v_mfma_i32_32x32x8i8 a[80+0:95+0], v[vgprValuA_X0_I0+1+0+0], v[vgprValuB_X0_I0+2+0+0], a[80:95]
/*  mfmaIndex:6  */
_ds_load_u8_d16_hi v101, v[vgprLocalReadAddrB] offset:2720 // L -> Reg lro=2048 swapByteOffset=0 ti=32 vIdx=5 rIdx=2 oIdx=0 buffer=1 iui=0
_ds_load_u8_d16_hi v102, v[vgprLocalReadAddrB] offset:2976 // L -> Reg lro=2048 swapByteOffset=0 ti=32 vIdx=5 rIdx=3 oIdx=0 buffer=1 iui=0
_ds_load_u8 v[vgprValuB_X1_I0+6], v[vgprLocalReadAddrB] offset:2240 // L -> Reg lro=2048 swapByteOffset=0 ti=32 vIdx=6 rIdx=0 oIdx=0 buffer=1 iui=0
_ds_load_u8 v103, v[vgprLocalReadAddrB] offset:2496 // L -> Reg lro=2048 swapByteOffset=0 ti=32 vIdx=6 rIdx=1 oIdx=0 buffer=1 iui=0
_ds_load_u8_d16_hi v104, v[vgprLocalReadAddrB] offset:2752 // L -> Reg lro=2048 swapByteOffset=0 ti=32 vIdx=6 rIdx=2 oIdx=0 buffer=1 iui=0
_ds_load_u8_d16_hi v105, v[vgprLocalReadAddrB] offset:3008 // L -> Reg lro=2048 swapByteOffset=0 ti=32 vIdx=6 rIdx=3 oIdx=0 buffer=1 iui=0
v_mfma_i32_32x32x8i8 a[112+0:127+0], v[vgprValuA_X0_I0+1+0+0], v[vgprValuB_X0_I0+3+0+0], a[112:127]
/*  mfmaIndex:7  */
_ds_load_u8 v[vgprValuB_X1_I0+7], v[vgprLocalReadAddrB] offset:2272 // L -> Reg lro=2048 swapByteOffset=0 ti=32 vIdx=7 rIdx=0 oIdx=0 buffer=1 iui=0
_ds_load_u8 v106, v[vgprLocalReadAddrB] offset:2528 // L -> Reg lro=2048 swapByteOffset=0 ti=32 vIdx=7 rIdx=1 oIdx=0 buffer=1 iui=0
_ds_load_u8_d16_hi v107, v[vgprLocalReadAddrB] offset:2784 // L -> Reg lro=2048 swapByteOffset=0 ti=32 vIdx=7 rIdx=2 oIdx=0 buffer=1 iui=0
_ds_load_u8_d16_hi v108, v[vgprLocalReadAddrB] offset:3040 // L -> Reg lro=2048 swapByteOffset=0 ti=32 vIdx=7 rIdx=3 oIdx=0 buffer=1 iui=0
/* localReadsVacancy: latencyLeft 5 */
v_mfma_i32_32x32x8i8 a[96+0:111+0], v[vgprValuA_X0_I0+0+0+0], v[vgprValuB_X0_I0+3+0+0], a[96:111]
/*  mfmaIndex:8  */
/* localReadsVacancy: latencyLeft 13 */
v_mfma_i32_32x32x8i8 a[128+0:143+0], v[vgprValuA_X0_I0+0+0+0], v[vgprValuB_X0_I0+4+0+0], a[128:143]
/*  mfmaIndex:9  */
	;; [unrolled: 3-line block ×8, first 2 shown]
/* localReadsVacancy: latencyLeft 13 */
v_mfma_i32_32x32x8i8 a[224+0:239+0], v[vgprValuA_X0_I0+0+0+0], v[vgprValuB_X0_I0+7+0+0], a[224:239]
/* numPrefetchIter=0 */
/* dataAtIterA=-1 numReadsIterA=1 skipReadsIterA=1 readsPerIterA=8 */
/* dataAtIterB=-1 numReadsIterB=1 skipReadsIterB=1 readsPerIterB=32 */


/* iter 1 (last unrolled loop) */

/*  grEndMfmaIndex:0, lwStartMfmaIndex:54, lwEndMfmaIndex:54  */
/*  numMfmaForLR:7, barrierMfmaIndex:56 */
/*  mfmaIndex:16  */
_ds_load_u8 v[vgprValuA_X0_I0+0], v[vgprLocalReadAddrA] offset:4096 // L -> Reg lro=4096 swapByteOffset=0 ti=128 vIdx=0 rIdx=0 oIdx=0 buffer=0 iui=0
_ds_load_u8 v49, v[vgprLocalReadAddrA] offset:4352 // L -> Reg lro=4096 swapByteOffset=0 ti=128 vIdx=0 rIdx=1 oIdx=0 buffer=0 iui=0
_ds_load_u8_d16_hi v50, v[vgprLocalReadAddrA] offset:4608 // L -> Reg lro=4096 swapByteOffset=0 ti=128 vIdx=0 rIdx=2 oIdx=0 buffer=0 iui=0
_ds_load_u8_d16_hi v51, v[vgprLocalReadAddrA] offset:4864 // L -> Reg lro=4096 swapByteOffset=0 ti=128 vIdx=0 rIdx=3 oIdx=0 buffer=0 iui=0
_ds_load_u8 v[vgprValuB_X0_I0+0], v[vgprLocalReadAddrB] offset:4096 // L -> Reg lro=4096 swapByteOffset=0 ti=32 vIdx=0 rIdx=0 oIdx=0 buffer=0 iui=0
_ds_load_u8 v55, v[vgprLocalReadAddrB] offset:4352 // L -> Reg lro=4096 swapByteOffset=0 ti=32 vIdx=0 rIdx=1 oIdx=0 buffer=0 iui=0
s_waitcnt lgkmcnt(6)                               // lgkmcnt=0 vmcnt=-1wait for prior local read local write old=0, new=6 newLW=0 newLR=6
/* pack scheduling: packAIdx:3, packBIdx:3 */
_v_lshl_or_b32 v[vgprValuA_X1_I0+0], v79, 0x8, v[vgprValuA_X1_I0+0] // pack two int8 Vgpr to one half Vgpr
_v_lshl_or_b32 v80, v81, 0x8, v80                  // pack two int8 Vgpr to one half Vgpr
v_or_b32 v[vgprValuA_X1_I0+0], v[vgprValuA_X1_I0+0], v80 // pack two half Vgpr to one Vgpr
_v_lshl_or_b32 v[vgprValuB_X1_I0+0], v85, 0x8, v[vgprValuB_X1_I0+0] // pack two int8 Vgpr to one half Vgpr
_v_lshl_or_b32 v86, v87, 0x8, v86                  // pack two int8 Vgpr to one half Vgpr
v_or_b32 v[vgprValuB_X1_I0+0], v[vgprValuB_X1_I0+0], v86 // pack two half Vgpr to one Vgpr
_v_lshl_or_b32 v[vgprValuA_X1_I0+1], v82, 0x8, v[vgprValuA_X1_I0+1] // pack two int8 Vgpr to one half Vgpr
_v_lshl_or_b32 v83, v84, 0x8, v83                  // pack two int8 Vgpr to one half Vgpr
v_or_b32 v[vgprValuA_X1_I0+1], v[vgprValuA_X1_I0+1], v83 // pack two half Vgpr to one Vgpr
v_mfma_i32_32x32x8i8 a[0+0:15+0], v[vgprValuA_X1_I0+0+0+0], v[vgprValuB_X1_I0+0+0+0], a[0:15]
/*  mfmaIndex:17  */
_ds_load_u8_d16_hi v56, v[vgprLocalReadAddrB] offset:4608 // L -> Reg lro=4096 swapByteOffset=0 ti=32 vIdx=0 rIdx=2 oIdx=0 buffer=0 iui=0
_ds_load_u8_d16_hi v57, v[vgprLocalReadAddrB] offset:4864 // L -> Reg lro=4096 swapByteOffset=0 ti=32 vIdx=0 rIdx=3 oIdx=0 buffer=0 iui=0
_ds_load_u8 v[vgprValuA_X0_I0+1], v[vgprLocalReadAddrA] offset:4224 // L -> Reg lro=4096 swapByteOffset=0 ti=128 vIdx=1 rIdx=0 oIdx=0 buffer=0 iui=0
_ds_load_u8 v52, v[vgprLocalReadAddrA] offset:4480 // L -> Reg lro=4096 swapByteOffset=0 ti=128 vIdx=1 rIdx=1 oIdx=0 buffer=0 iui=0
_ds_load_u8_d16_hi v53, v[vgprLocalReadAddrA] offset:4736 // L -> Reg lro=4096 swapByteOffset=0 ti=128 vIdx=1 rIdx=2 oIdx=0 buffer=0 iui=0
_ds_load_u8_d16_hi v54, v[vgprLocalReadAddrA] offset:4992 // L -> Reg lro=4096 swapByteOffset=0 ti=128 vIdx=1 rIdx=3 oIdx=0 buffer=0 iui=0
/* pack scheduling: packAIdx:6, packBIdx:3 */
_v_lshl_or_b32 v[vgprValuB_X1_I0+1], v88, 0x8, v[vgprValuB_X1_I0+1] // pack two int8 Vgpr to one half Vgpr
_v_lshl_or_b32 v89, v90, 0x8, v89                  // pack two int8 Vgpr to one half Vgpr
v_or_b32 v[vgprValuB_X1_I0+1], v[vgprValuB_X1_I0+1], v89 // pack two half Vgpr to one Vgpr
_v_lshl_or_b32 v[vgprValuB_X1_I0+2], v91, 0x8, v[vgprValuB_X1_I0+2] // pack two int8 Vgpr to one half Vgpr
_v_lshl_or_b32 v92, v93, 0x8, v92                  // pack two int8 Vgpr to one half Vgpr
v_or_b32 v[vgprValuB_X1_I0+2], v[vgprValuB_X1_I0+2], v92 // pack two half Vgpr to one Vgpr
v_mfma_i32_32x32x8i8 a[16+0:31+0], v[vgprValuA_X1_I0+1+0+0], v[vgprValuB_X1_I0+0+0+0], a[16:31]
/*  mfmaIndex:18  */
_ds_load_u8 v[vgprValuB_X0_I0+1], v[vgprLocalReadAddrB] offset:4128 // L -> Reg lro=4096 swapByteOffset=0 ti=32 vIdx=1 rIdx=0 oIdx=0 buffer=0 iui=0
_ds_load_u8 v58, v[vgprLocalReadAddrB] offset:4384 // L -> Reg lro=4096 swapByteOffset=0 ti=32 vIdx=1 rIdx=1 oIdx=0 buffer=0 iui=0
_ds_load_u8_d16_hi v59, v[vgprLocalReadAddrB] offset:4640 // L -> Reg lro=4096 swapByteOffset=0 ti=32 vIdx=1 rIdx=2 oIdx=0 buffer=0 iui=0
_ds_load_u8_d16_hi v60, v[vgprLocalReadAddrB] offset:4896 // L -> Reg lro=4096 swapByteOffset=0 ti=32 vIdx=1 rIdx=3 oIdx=0 buffer=0 iui=0
_ds_load_u8 v[vgprValuB_X0_I0+2], v[vgprLocalReadAddrB] offset:4160 // L -> Reg lro=4096 swapByteOffset=0 ti=32 vIdx=2 rIdx=0 oIdx=0 buffer=0 iui=0
_ds_load_u8 v61, v[vgprLocalReadAddrB] offset:4416 // L -> Reg lro=4096 swapByteOffset=0 ti=32 vIdx=2 rIdx=1 oIdx=0 buffer=0 iui=0
/* pack scheduling: packAIdx:6, packBIdx:6 */
_v_lshl_or_b32 v[vgprValuB_X1_I0+3], v94, 0x8, v[vgprValuB_X1_I0+3] // pack two int8 Vgpr to one half Vgpr
_v_lshl_or_b32 v95, v96, 0x8, v95                  // pack two int8 Vgpr to one half Vgpr
v_or_b32 v[vgprValuB_X1_I0+3], v[vgprValuB_X1_I0+3], v95 // pack two half Vgpr to one Vgpr
_v_lshl_or_b32 v[vgprValuB_X1_I0+4], v97, 0x8, v[vgprValuB_X1_I0+4] // pack two int8 Vgpr to one half Vgpr
_v_lshl_or_b32 v98, v99, 0x8, v98                  // pack two int8 Vgpr to one half Vgpr
v_or_b32 v[vgprValuB_X1_I0+4], v[vgprValuB_X1_I0+4], v98 // pack two half Vgpr to one Vgpr
v_mfma_i32_32x32x8i8 a[48+0:63+0], v[vgprValuA_X1_I0+1+0+0], v[vgprValuB_X1_I0+1+0+0], a[48:63]
/*  mfmaIndex:19  */
_ds_load_u8_d16_hi v62, v[vgprLocalReadAddrB] offset:4672 // L -> Reg lro=4096 swapByteOffset=0 ti=32 vIdx=2 rIdx=2 oIdx=0 buffer=0 iui=0
_ds_load_u8_d16_hi v63, v[vgprLocalReadAddrB] offset:4928 // L -> Reg lro=4096 swapByteOffset=0 ti=32 vIdx=2 rIdx=3 oIdx=0 buffer=0 iui=0
_ds_load_u8 v[vgprValuB_X0_I0+3], v[vgprLocalReadAddrB] offset:4192 // L -> Reg lro=4096 swapByteOffset=0 ti=32 vIdx=3 rIdx=0 oIdx=0 buffer=0 iui=0
_ds_load_u8 v64, v[vgprLocalReadAddrB] offset:4448 // L -> Reg lro=4096 swapByteOffset=0 ti=32 vIdx=3 rIdx=1 oIdx=0 buffer=0 iui=0
_ds_load_u8_d16_hi v65, v[vgprLocalReadAddrB] offset:4704 // L -> Reg lro=4096 swapByteOffset=0 ti=32 vIdx=3 rIdx=2 oIdx=0 buffer=0 iui=0
_ds_load_u8_d16_hi v66, v[vgprLocalReadAddrB] offset:4960 // L -> Reg lro=4096 swapByteOffset=0 ti=32 vIdx=3 rIdx=3 oIdx=0 buffer=0 iui=0
/* pack scheduling: packAIdx:6, packBIdx:6 */
_v_lshl_or_b32 v[vgprValuB_X1_I0+5], v100, 0x8, v[vgprValuB_X1_I0+5] // pack two int8 Vgpr to one half Vgpr
_v_lshl_or_b32 v101, v102, 0x8, v101               // pack two int8 Vgpr to one half Vgpr
v_or_b32 v[vgprValuB_X1_I0+5], v[vgprValuB_X1_I0+5], v101 // pack two half Vgpr to one Vgpr
_v_lshl_or_b32 v[vgprValuB_X1_I0+6], v103, 0x8, v[vgprValuB_X1_I0+6] // pack two int8 Vgpr to one half Vgpr
_v_lshl_or_b32 v104, v105, 0x8, v104               // pack two int8 Vgpr to one half Vgpr
v_or_b32 v[vgprValuB_X1_I0+6], v[vgprValuB_X1_I0+6], v104 // pack two half Vgpr to one Vgpr
v_mfma_i32_32x32x8i8 a[32+0:47+0], v[vgprValuA_X1_I0+0+0+0], v[vgprValuB_X1_I0+1+0+0], a[32:47]
/*  mfmaIndex:20  */
_ds_load_u8 v[vgprValuB_X0_I0+4], v[vgprLocalReadAddrB] offset:4224 // L -> Reg lro=4096 swapByteOffset=0 ti=32 vIdx=4 rIdx=0 oIdx=0 buffer=0 iui=0
_ds_load_u8 v67, v[vgprLocalReadAddrB] offset:4480 // L -> Reg lro=4096 swapByteOffset=0 ti=32 vIdx=4 rIdx=1 oIdx=0 buffer=0 iui=0
_ds_load_u8_d16_hi v68, v[vgprLocalReadAddrB] offset:4736 // L -> Reg lro=4096 swapByteOffset=0 ti=32 vIdx=4 rIdx=2 oIdx=0 buffer=0 iui=0
_ds_load_u8_d16_hi v69, v[vgprLocalReadAddrB] offset:4992 // L -> Reg lro=4096 swapByteOffset=0 ti=32 vIdx=4 rIdx=3 oIdx=0 buffer=0 iui=0
_ds_load_u8 v[vgprValuB_X0_I0+5], v[vgprLocalReadAddrB] offset:4256 // L -> Reg lro=4096 swapByteOffset=0 ti=32 vIdx=5 rIdx=0 oIdx=0 buffer=0 iui=0
_ds_load_u8 v70, v[vgprLocalReadAddrB] offset:4512 // L -> Reg lro=4096 swapByteOffset=0 ti=32 vIdx=5 rIdx=1 oIdx=0 buffer=0 iui=0
/* pack scheduling: packAIdx:6, packBIdx:9 */
_v_lshl_or_b32 v[vgprValuB_X1_I0+7], v106, 0x8, v[vgprValuB_X1_I0+7] // pack two int8 Vgpr to one half Vgpr
_v_lshl_or_b32 v107, v108, 0x8, v107               // pack two int8 Vgpr to one half Vgpr
v_or_b32 v[vgprValuB_X1_I0+7], v[vgprValuB_X1_I0+7], v107 // pack two half Vgpr to one Vgpr
v_mfma_i32_32x32x8i8 a[64+0:79+0], v[vgprValuA_X1_I0+0+0+0], v[vgprValuB_X1_I0+2+0+0], a[64:79]
/*  mfmaIndex:21  */
_ds_load_u8_d16_hi v71, v[vgprLocalReadAddrB] offset:4768 // L -> Reg lro=4096 swapByteOffset=0 ti=32 vIdx=5 rIdx=2 oIdx=0 buffer=0 iui=0
_ds_load_u8_d16_hi v72, v[vgprLocalReadAddrB] offset:5024 // L -> Reg lro=4096 swapByteOffset=0 ti=32 vIdx=5 rIdx=3 oIdx=0 buffer=0 iui=0
_ds_load_u8 v[vgprValuB_X0_I0+6], v[vgprLocalReadAddrB] offset:4288 // L -> Reg lro=4096 swapByteOffset=0 ti=32 vIdx=6 rIdx=0 oIdx=0 buffer=0 iui=0
_ds_load_u8 v73, v[vgprLocalReadAddrB] offset:4544 // L -> Reg lro=4096 swapByteOffset=0 ti=32 vIdx=6 rIdx=1 oIdx=0 buffer=0 iui=0
_ds_load_u8_d16_hi v74, v[vgprLocalReadAddrB] offset:4800 // L -> Reg lro=4096 swapByteOffset=0 ti=32 vIdx=6 rIdx=2 oIdx=0 buffer=0 iui=0
_ds_load_u8_d16_hi v75, v[vgprLocalReadAddrB] offset:5056 // L -> Reg lro=4096 swapByteOffset=0 ti=32 vIdx=6 rIdx=3 oIdx=0 buffer=0 iui=0
v_mfma_i32_32x32x8i8 a[80+0:95+0], v[vgprValuA_X1_I0+1+0+0], v[vgprValuB_X1_I0+2+0+0], a[80:95]
/*  mfmaIndex:22  */
_ds_load_u8 v[vgprValuB_X0_I0+7], v[vgprLocalReadAddrB] offset:4320 // L -> Reg lro=4096 swapByteOffset=0 ti=32 vIdx=7 rIdx=0 oIdx=0 buffer=0 iui=0
_ds_load_u8 v76, v[vgprLocalReadAddrB] offset:4576 // L -> Reg lro=4096 swapByteOffset=0 ti=32 vIdx=7 rIdx=1 oIdx=0 buffer=0 iui=0
_ds_load_u8_d16_hi v77, v[vgprLocalReadAddrB] offset:4832 // L -> Reg lro=4096 swapByteOffset=0 ti=32 vIdx=7 rIdx=2 oIdx=0 buffer=0 iui=0
_ds_load_u8_d16_hi v78, v[vgprLocalReadAddrB] offset:5088 // L -> Reg lro=4096 swapByteOffset=0 ti=32 vIdx=7 rIdx=3 oIdx=0 buffer=0 iui=0
/* localReadsVacancy: latencyLeft 5 */
v_mfma_i32_32x32x8i8 a[112+0:127+0], v[vgprValuA_X1_I0+1+0+0], v[vgprValuB_X1_I0+3+0+0], a[112:127]
/*  mfmaIndex:23  */
/* localReadsVacancy: latencyLeft 13 */
v_mfma_i32_32x32x8i8 a[96+0:111+0], v[vgprValuA_X1_I0+0+0+0], v[vgprValuB_X1_I0+3+0+0], a[96:111]
/*  mfmaIndex:24  */
	;; [unrolled: 3-line block ×9, first 2 shown]
/* localReadsVacancy: latencyLeft 13 */
v_mfma_i32_32x32x8i8 a[224+0:239+0], v[vgprValuA_X1_I0+0+0+0], v[vgprValuB_X1_I0+7+0+0], a[224:239]
/* numPrefetchIter=0 */
/* dataAtIterA=0 numReadsIterA=2 skipReadsIterA=1 readsPerIterA=8 */
/* dataAtIterB=0 numReadsIterB=2 skipReadsIterB=1 readsPerIterB=32 */


/* iter 2 (last unrolled loop) */

/*  grEndMfmaIndex:0, lwStartMfmaIndex:54, lwEndMfmaIndex:54  */
/*  numMfmaForLR:7, barrierMfmaIndex:56 */
/*  mfmaIndex:32  */
_ds_load_u8 v[vgprValuA_X1_I0+0], v[vgprLocalReadAddrA] offset:6144 // L -> Reg lro=6144 swapByteOffset=0 ti=128 vIdx=0 rIdx=0 oIdx=0 buffer=1 iui=0
_ds_load_u8 v79, v[vgprLocalReadAddrA] offset:6400 // L -> Reg lro=6144 swapByteOffset=0 ti=128 vIdx=0 rIdx=1 oIdx=0 buffer=1 iui=0
_ds_load_u8_d16_hi v80, v[vgprLocalReadAddrA] offset:6656 // L -> Reg lro=6144 swapByteOffset=0 ti=128 vIdx=0 rIdx=2 oIdx=0 buffer=1 iui=0
_ds_load_u8_d16_hi v81, v[vgprLocalReadAddrA] offset:6912 // L -> Reg lro=6144 swapByteOffset=0 ti=128 vIdx=0 rIdx=3 oIdx=0 buffer=1 iui=0
_ds_load_u8 v[vgprValuB_X1_I0+0], v[vgprLocalReadAddrB] offset:6144 // L -> Reg lro=6144 swapByteOffset=0 ti=32 vIdx=0 rIdx=0 oIdx=0 buffer=1 iui=0
_ds_load_u8 v85, v[vgprLocalReadAddrB] offset:6400 // L -> Reg lro=6144 swapByteOffset=0 ti=32 vIdx=0 rIdx=1 oIdx=0 buffer=1 iui=0
s_waitcnt lgkmcnt(6)                               // lgkmcnt=0 vmcnt=-1wait for prior local read local write old=0, new=6 newLW=0 newLR=6
/* pack scheduling: packAIdx:3, packBIdx:3 */
_v_lshl_or_b32 v[vgprValuA_X0_I0+0], v49, 0x8, v[vgprValuA_X0_I0+0] // pack two int8 Vgpr to one half Vgpr
_v_lshl_or_b32 v50, v51, 0x8, v50                  // pack two int8 Vgpr to one half Vgpr
v_or_b32 v[vgprValuA_X0_I0+0], v[vgprValuA_X0_I0+0], v50 // pack two half Vgpr to one Vgpr
_v_lshl_or_b32 v[vgprValuB_X0_I0+0], v55, 0x8, v[vgprValuB_X0_I0+0] // pack two int8 Vgpr to one half Vgpr
_v_lshl_or_b32 v56, v57, 0x8, v56                  // pack two int8 Vgpr to one half Vgpr
v_or_b32 v[vgprValuB_X0_I0+0], v[vgprValuB_X0_I0+0], v56 // pack two half Vgpr to one Vgpr
_v_lshl_or_b32 v[vgprValuA_X0_I0+1], v52, 0x8, v[vgprValuA_X0_I0+1] // pack two int8 Vgpr to one half Vgpr
_v_lshl_or_b32 v53, v54, 0x8, v53                  // pack two int8 Vgpr to one half Vgpr
v_or_b32 v[vgprValuA_X0_I0+1], v[vgprValuA_X0_I0+1], v53 // pack two half Vgpr to one Vgpr
v_mfma_i32_32x32x8i8 a[0+0:15+0], v[vgprValuA_X0_I0+0+0+0], v[vgprValuB_X0_I0+0+0+0], a[0:15]
/*  mfmaIndex:33  */
_ds_load_u8_d16_hi v86, v[vgprLocalReadAddrB] offset:6656 // L -> Reg lro=6144 swapByteOffset=0 ti=32 vIdx=0 rIdx=2 oIdx=0 buffer=1 iui=0
_ds_load_u8_d16_hi v87, v[vgprLocalReadAddrB] offset:6912 // L -> Reg lro=6144 swapByteOffset=0 ti=32 vIdx=0 rIdx=3 oIdx=0 buffer=1 iui=0
_ds_load_u8 v[vgprValuA_X1_I0+1], v[vgprLocalReadAddrA] offset:6272 // L -> Reg lro=6144 swapByteOffset=0 ti=128 vIdx=1 rIdx=0 oIdx=0 buffer=1 iui=0
_ds_load_u8 v82, v[vgprLocalReadAddrA] offset:6528 // L -> Reg lro=6144 swapByteOffset=0 ti=128 vIdx=1 rIdx=1 oIdx=0 buffer=1 iui=0
_ds_load_u8_d16_hi v83, v[vgprLocalReadAddrA] offset:6784 // L -> Reg lro=6144 swapByteOffset=0 ti=128 vIdx=1 rIdx=2 oIdx=0 buffer=1 iui=0
_ds_load_u8_d16_hi v84, v[vgprLocalReadAddrA] offset:7040 // L -> Reg lro=6144 swapByteOffset=0 ti=128 vIdx=1 rIdx=3 oIdx=0 buffer=1 iui=0
/* pack scheduling: packAIdx:6, packBIdx:3 */
_v_lshl_or_b32 v[vgprValuB_X0_I0+1], v58, 0x8, v[vgprValuB_X0_I0+1] // pack two int8 Vgpr to one half Vgpr
_v_lshl_or_b32 v59, v60, 0x8, v59                  // pack two int8 Vgpr to one half Vgpr
v_or_b32 v[vgprValuB_X0_I0+1], v[vgprValuB_X0_I0+1], v59 // pack two half Vgpr to one Vgpr
_v_lshl_or_b32 v[vgprValuB_X0_I0+2], v61, 0x8, v[vgprValuB_X0_I0+2] // pack two int8 Vgpr to one half Vgpr
_v_lshl_or_b32 v62, v63, 0x8, v62                  // pack two int8 Vgpr to one half Vgpr
v_or_b32 v[vgprValuB_X0_I0+2], v[vgprValuB_X0_I0+2], v62 // pack two half Vgpr to one Vgpr
v_mfma_i32_32x32x8i8 a[16+0:31+0], v[vgprValuA_X0_I0+1+0+0], v[vgprValuB_X0_I0+0+0+0], a[16:31]
/*  mfmaIndex:34  */
_ds_load_u8 v[vgprValuB_X1_I0+1], v[vgprLocalReadAddrB] offset:6176 // L -> Reg lro=6144 swapByteOffset=0 ti=32 vIdx=1 rIdx=0 oIdx=0 buffer=1 iui=0
_ds_load_u8 v88, v[vgprLocalReadAddrB] offset:6432 // L -> Reg lro=6144 swapByteOffset=0 ti=32 vIdx=1 rIdx=1 oIdx=0 buffer=1 iui=0
_ds_load_u8_d16_hi v89, v[vgprLocalReadAddrB] offset:6688 // L -> Reg lro=6144 swapByteOffset=0 ti=32 vIdx=1 rIdx=2 oIdx=0 buffer=1 iui=0
_ds_load_u8_d16_hi v90, v[vgprLocalReadAddrB] offset:6944 // L -> Reg lro=6144 swapByteOffset=0 ti=32 vIdx=1 rIdx=3 oIdx=0 buffer=1 iui=0
_ds_load_u8 v[vgprValuB_X1_I0+2], v[vgprLocalReadAddrB] offset:6208 // L -> Reg lro=6144 swapByteOffset=0 ti=32 vIdx=2 rIdx=0 oIdx=0 buffer=1 iui=0
_ds_load_u8 v91, v[vgprLocalReadAddrB] offset:6464 // L -> Reg lro=6144 swapByteOffset=0 ti=32 vIdx=2 rIdx=1 oIdx=0 buffer=1 iui=0
/* pack scheduling: packAIdx:6, packBIdx:6 */
_v_lshl_or_b32 v[vgprValuB_X0_I0+3], v64, 0x8, v[vgprValuB_X0_I0+3] // pack two int8 Vgpr to one half Vgpr
_v_lshl_or_b32 v65, v66, 0x8, v65                  // pack two int8 Vgpr to one half Vgpr
v_or_b32 v[vgprValuB_X0_I0+3], v[vgprValuB_X0_I0+3], v65 // pack two half Vgpr to one Vgpr
_v_lshl_or_b32 v[vgprValuB_X0_I0+4], v67, 0x8, v[vgprValuB_X0_I0+4] // pack two int8 Vgpr to one half Vgpr
_v_lshl_or_b32 v68, v69, 0x8, v68                  // pack two int8 Vgpr to one half Vgpr
v_or_b32 v[vgprValuB_X0_I0+4], v[vgprValuB_X0_I0+4], v68 // pack two half Vgpr to one Vgpr
v_mfma_i32_32x32x8i8 a[48+0:63+0], v[vgprValuA_X0_I0+1+0+0], v[vgprValuB_X0_I0+1+0+0], a[48:63]
/*  mfmaIndex:35  */
_ds_load_u8_d16_hi v92, v[vgprLocalReadAddrB] offset:6720 // L -> Reg lro=6144 swapByteOffset=0 ti=32 vIdx=2 rIdx=2 oIdx=0 buffer=1 iui=0
_ds_load_u8_d16_hi v93, v[vgprLocalReadAddrB] offset:6976 // L -> Reg lro=6144 swapByteOffset=0 ti=32 vIdx=2 rIdx=3 oIdx=0 buffer=1 iui=0
_ds_load_u8 v[vgprValuB_X1_I0+3], v[vgprLocalReadAddrB] offset:6240 // L -> Reg lro=6144 swapByteOffset=0 ti=32 vIdx=3 rIdx=0 oIdx=0 buffer=1 iui=0
_ds_load_u8 v94, v[vgprLocalReadAddrB] offset:6496 // L -> Reg lro=6144 swapByteOffset=0 ti=32 vIdx=3 rIdx=1 oIdx=0 buffer=1 iui=0
_ds_load_u8_d16_hi v95, v[vgprLocalReadAddrB] offset:6752 // L -> Reg lro=6144 swapByteOffset=0 ti=32 vIdx=3 rIdx=2 oIdx=0 buffer=1 iui=0
_ds_load_u8_d16_hi v96, v[vgprLocalReadAddrB] offset:7008 // L -> Reg lro=6144 swapByteOffset=0 ti=32 vIdx=3 rIdx=3 oIdx=0 buffer=1 iui=0
/* pack scheduling: packAIdx:6, packBIdx:6 */
_v_lshl_or_b32 v[vgprValuB_X0_I0+5], v70, 0x8, v[vgprValuB_X0_I0+5] // pack two int8 Vgpr to one half Vgpr
_v_lshl_or_b32 v71, v72, 0x8, v71                  // pack two int8 Vgpr to one half Vgpr
v_or_b32 v[vgprValuB_X0_I0+5], v[vgprValuB_X0_I0+5], v71 // pack two half Vgpr to one Vgpr
_v_lshl_or_b32 v[vgprValuB_X0_I0+6], v73, 0x8, v[vgprValuB_X0_I0+6] // pack two int8 Vgpr to one half Vgpr
_v_lshl_or_b32 v74, v75, 0x8, v74                  // pack two int8 Vgpr to one half Vgpr
v_or_b32 v[vgprValuB_X0_I0+6], v[vgprValuB_X0_I0+6], v74 // pack two half Vgpr to one Vgpr
v_mfma_i32_32x32x8i8 a[32+0:47+0], v[vgprValuA_X0_I0+0+0+0], v[vgprValuB_X0_I0+1+0+0], a[32:47]
/*  mfmaIndex:36  */
_ds_load_u8 v[vgprValuB_X1_I0+4], v[vgprLocalReadAddrB] offset:6272 // L -> Reg lro=6144 swapByteOffset=0 ti=32 vIdx=4 rIdx=0 oIdx=0 buffer=1 iui=0
_ds_load_u8 v97, v[vgprLocalReadAddrB] offset:6528 // L -> Reg lro=6144 swapByteOffset=0 ti=32 vIdx=4 rIdx=1 oIdx=0 buffer=1 iui=0
_ds_load_u8_d16_hi v98, v[vgprLocalReadAddrB] offset:6784 // L -> Reg lro=6144 swapByteOffset=0 ti=32 vIdx=4 rIdx=2 oIdx=0 buffer=1 iui=0
_ds_load_u8_d16_hi v99, v[vgprLocalReadAddrB] offset:7040 // L -> Reg lro=6144 swapByteOffset=0 ti=32 vIdx=4 rIdx=3 oIdx=0 buffer=1 iui=0
_ds_load_u8 v[vgprValuB_X1_I0+5], v[vgprLocalReadAddrB] offset:6304 // L -> Reg lro=6144 swapByteOffset=0 ti=32 vIdx=5 rIdx=0 oIdx=0 buffer=1 iui=0
_ds_load_u8 v100, v[vgprLocalReadAddrB] offset:6560 // L -> Reg lro=6144 swapByteOffset=0 ti=32 vIdx=5 rIdx=1 oIdx=0 buffer=1 iui=0
/* pack scheduling: packAIdx:6, packBIdx:9 */
_v_lshl_or_b32 v[vgprValuB_X0_I0+7], v76, 0x8, v[vgprValuB_X0_I0+7] // pack two int8 Vgpr to one half Vgpr
_v_lshl_or_b32 v77, v78, 0x8, v77                  // pack two int8 Vgpr to one half Vgpr
v_or_b32 v[vgprValuB_X0_I0+7], v[vgprValuB_X0_I0+7], v77 // pack two half Vgpr to one Vgpr
v_mfma_i32_32x32x8i8 a[64+0:79+0], v[vgprValuA_X0_I0+0+0+0], v[vgprValuB_X0_I0+2+0+0], a[64:79]
/*  mfmaIndex:37  */
_ds_load_u8_d16_hi v101, v[vgprLocalReadAddrB] offset:6816 // L -> Reg lro=6144 swapByteOffset=0 ti=32 vIdx=5 rIdx=2 oIdx=0 buffer=1 iui=0
_ds_load_u8_d16_hi v102, v[vgprLocalReadAddrB] offset:7072 // L -> Reg lro=6144 swapByteOffset=0 ti=32 vIdx=5 rIdx=3 oIdx=0 buffer=1 iui=0
_ds_load_u8 v[vgprValuB_X1_I0+6], v[vgprLocalReadAddrB] offset:6336 // L -> Reg lro=6144 swapByteOffset=0 ti=32 vIdx=6 rIdx=0 oIdx=0 buffer=1 iui=0
_ds_load_u8 v103, v[vgprLocalReadAddrB] offset:6592 // L -> Reg lro=6144 swapByteOffset=0 ti=32 vIdx=6 rIdx=1 oIdx=0 buffer=1 iui=0
_ds_load_u8_d16_hi v104, v[vgprLocalReadAddrB] offset:6848 // L -> Reg lro=6144 swapByteOffset=0 ti=32 vIdx=6 rIdx=2 oIdx=0 buffer=1 iui=0
_ds_load_u8_d16_hi v105, v[vgprLocalReadAddrB] offset:7104 // L -> Reg lro=6144 swapByteOffset=0 ti=32 vIdx=6 rIdx=3 oIdx=0 buffer=1 iui=0
v_mfma_i32_32x32x8i8 a[80+0:95+0], v[vgprValuA_X0_I0+1+0+0], v[vgprValuB_X0_I0+2+0+0], a[80:95]
/*  mfmaIndex:38  */
_ds_load_u8 v[vgprValuB_X1_I0+7], v[vgprLocalReadAddrB] offset:6368 // L -> Reg lro=6144 swapByteOffset=0 ti=32 vIdx=7 rIdx=0 oIdx=0 buffer=1 iui=0
_ds_load_u8 v106, v[vgprLocalReadAddrB] offset:6624 // L -> Reg lro=6144 swapByteOffset=0 ti=32 vIdx=7 rIdx=1 oIdx=0 buffer=1 iui=0
_ds_load_u8_d16_hi v107, v[vgprLocalReadAddrB] offset:6880 // L -> Reg lro=6144 swapByteOffset=0 ti=32 vIdx=7 rIdx=2 oIdx=0 buffer=1 iui=0
_ds_load_u8_d16_hi v108, v[vgprLocalReadAddrB] offset:7136 // L -> Reg lro=6144 swapByteOffset=0 ti=32 vIdx=7 rIdx=3 oIdx=0 buffer=1 iui=0
/* localReadsVacancy: latencyLeft 5 */
v_mfma_i32_32x32x8i8 a[112+0:127+0], v[vgprValuA_X0_I0+1+0+0], v[vgprValuB_X0_I0+3+0+0], a[112:127]
/*  mfmaIndex:39  */
/* localReadsVacancy: latencyLeft 13 */
v_mfma_i32_32x32x8i8 a[96+0:111+0], v[vgprValuA_X0_I0+0+0+0], v[vgprValuB_X0_I0+3+0+0], a[96:111]
/*  mfmaIndex:40  */
	;; [unrolled: 3-line block ×9, first 2 shown]
/* localReadsVacancy: latencyLeft 13 */
v_mfma_i32_32x32x8i8 a[224+0:239+0], v[vgprValuA_X0_I0+0+0+0], v[vgprValuB_X0_I0+7+0+0], a[224:239]
/* numPrefetchIter=0 */
/* dataAtIterA=1 numReadsIterA=3 skipReadsIterA=1 readsPerIterA=8 */
/* dataAtIterB=1 numReadsIterB=3 skipReadsIterB=1 readsPerIterB=32 */


/* iter 3 (last unrolled loop) */

/*  grEndMfmaIndex:0, lwStartMfmaIndex:54, lwEndMfmaIndex:54  */
/*  numMfmaForLR:7, barrierMfmaIndex:56 */
/*  mfmaIndex:48  */
s_waitcnt lgkmcnt(0)                               // lgkmcnt=0 vmcnt=-1wait for prior local read local write old=0, new=0 newLW=0 newLR=0
/* pack scheduling: packAIdx:3, packBIdx:3 */
_v_lshl_or_b32 v[vgprValuA_X1_I0+0], v79, 0x8, v[vgprValuA_X1_I0+0] // pack two int8 Vgpr to one half Vgpr
_v_lshl_or_b32 v80, v81, 0x8, v80                  // pack two int8 Vgpr to one half Vgpr
v_or_b32 v[vgprValuA_X1_I0+0], v[vgprValuA_X1_I0+0], v80 // pack two half Vgpr to one Vgpr
_v_lshl_or_b32 v[vgprValuB_X1_I0+0], v85, 0x8, v[vgprValuB_X1_I0+0] // pack two int8 Vgpr to one half Vgpr
_v_lshl_or_b32 v86, v87, 0x8, v86                  // pack two int8 Vgpr to one half Vgpr
v_or_b32 v[vgprValuB_X1_I0+0], v[vgprValuB_X1_I0+0], v86 // pack two half Vgpr to one Vgpr
_v_lshl_or_b32 v[vgprValuA_X1_I0+1], v82, 0x8, v[vgprValuA_X1_I0+1] // pack two int8 Vgpr to one half Vgpr
_v_lshl_or_b32 v83, v84, 0x8, v83                  // pack two int8 Vgpr to one half Vgpr
v_or_b32 v[vgprValuA_X1_I0+1], v[vgprValuA_X1_I0+1], v83 // pack two half Vgpr to one Vgpr
v_mfma_i32_32x32x8i8 a[0+0:15+0], v[vgprValuA_X1_I0+0+0+0], v[vgprValuB_X1_I0+0+0+0], a[0:15]
/*  mfmaIndex:49  */
/* pack scheduling: packAIdx:6, packBIdx:3 */
_v_lshl_or_b32 v[vgprValuB_X1_I0+1], v88, 0x8, v[vgprValuB_X1_I0+1] // pack two int8 Vgpr to one half Vgpr
_v_lshl_or_b32 v89, v90, 0x8, v89                  // pack two int8 Vgpr to one half Vgpr
v_or_b32 v[vgprValuB_X1_I0+1], v[vgprValuB_X1_I0+1], v89 // pack two half Vgpr to one Vgpr
_v_lshl_or_b32 v[vgprValuB_X1_I0+2], v91, 0x8, v[vgprValuB_X1_I0+2] // pack two int8 Vgpr to one half Vgpr
_v_lshl_or_b32 v92, v93, 0x8, v92                  // pack two int8 Vgpr to one half Vgpr
v_or_b32 v[vgprValuB_X1_I0+2], v[vgprValuB_X1_I0+2], v92 // pack two half Vgpr to one Vgpr
v_mfma_i32_32x32x8i8 a[16+0:31+0], v[vgprValuA_X1_I0+1+0+0], v[vgprValuB_X1_I0+0+0+0], a[16:31]
/*  mfmaIndex:50  */
/* pack scheduling: packAIdx:6, packBIdx:6 */
_v_lshl_or_b32 v[vgprValuB_X1_I0+3], v94, 0x8, v[vgprValuB_X1_I0+3] // pack two int8 Vgpr to one half Vgpr
_v_lshl_or_b32 v95, v96, 0x8, v95                  // pack two int8 Vgpr to one half Vgpr
v_or_b32 v[vgprValuB_X1_I0+3], v[vgprValuB_X1_I0+3], v95 // pack two half Vgpr to one Vgpr
_v_lshl_or_b32 v[vgprValuB_X1_I0+4], v97, 0x8, v[vgprValuB_X1_I0+4] // pack two int8 Vgpr to one half Vgpr
_v_lshl_or_b32 v98, v99, 0x8, v98                  // pack two int8 Vgpr to one half Vgpr
v_or_b32 v[vgprValuB_X1_I0+4], v[vgprValuB_X1_I0+4], v98 // pack two half Vgpr to one Vgpr
v_mfma_i32_32x32x8i8 a[48+0:63+0], v[vgprValuA_X1_I0+1+0+0], v[vgprValuB_X1_I0+1+0+0], a[48:63]
/*  mfmaIndex:51  */
/* pack scheduling: packAIdx:6, packBIdx:6 */
_v_lshl_or_b32 v[vgprValuB_X1_I0+5], v100, 0x8, v[vgprValuB_X1_I0+5] // pack two int8 Vgpr to one half Vgpr
_v_lshl_or_b32 v101, v102, 0x8, v101               // pack two int8 Vgpr to one half Vgpr
v_or_b32 v[vgprValuB_X1_I0+5], v[vgprValuB_X1_I0+5], v101 // pack two half Vgpr to one Vgpr
_v_lshl_or_b32 v[vgprValuB_X1_I0+6], v103, 0x8, v[vgprValuB_X1_I0+6] // pack two int8 Vgpr to one half Vgpr
_v_lshl_or_b32 v104, v105, 0x8, v104               // pack two int8 Vgpr to one half Vgpr
v_or_b32 v[vgprValuB_X1_I0+6], v[vgprValuB_X1_I0+6], v104 // pack two half Vgpr to one Vgpr
v_mfma_i32_32x32x8i8 a[32+0:47+0], v[vgprValuA_X1_I0+0+0+0], v[vgprValuB_X1_I0+1+0+0], a[32:47]
/*  mfmaIndex:52  */
/* pack scheduling: packAIdx:6, packBIdx:9 */
_v_lshl_or_b32 v[vgprValuB_X1_I0+7], v106, 0x8, v[vgprValuB_X1_I0+7] // pack two int8 Vgpr to one half Vgpr
_v_lshl_or_b32 v107, v108, 0x8, v107               // pack two int8 Vgpr to one half Vgpr
v_or_b32 v[vgprValuB_X1_I0+7], v[vgprValuB_X1_I0+7], v107 // pack two half Vgpr to one Vgpr
v_mfma_i32_32x32x8i8 a[64+0:79+0], v[vgprValuA_X1_I0+0+0+0], v[vgprValuB_X1_I0+2+0+0], a[64:79]
/*  mfmaIndex:53  */
v_mfma_i32_32x32x8i8 a[80+0:95+0], v[vgprValuA_X1_I0+1+0+0], v[vgprValuB_X1_I0+2+0+0], a[80:95]
/*  mfmaIndex:54  */
	;; [unrolled: 2-line block ×11, first 2 shown]
v_mfma_i32_32x32x8i8 a[224+0:239+0], v[vgprValuA_X1_I0+0+0+0], v[vgprValuB_X1_I0+7+0+0], a[224:239]
/* numPrefetchIter=0 */
/* dataAtIterA=2 numReadsIterA=3 skipReadsIterA=0 readsPerIterA=8 */
/* dataAtIterB=2 numReadsIterB=3 skipReadsIterB=0 readsPerIterB=32 */

/* Stores for OptNLL */
Summation_End_OptNLL_16:
/* endSummation: add vgpr [0...46) to pool */

/* Mapping of Acc register -> C Vgpr register */
/* computeStoreVgprs */
v_lshrrev_b32 v4, 6, v[vgprSerial]                 // v4 = v[vgprSerial] / 64
v_lshrrev_b32 v1, 2, v4                            // v1 = v4 / 4
v_mul_lo_u32 v1, 0x20, v1                          // wave coordination offset 1
v_and_b32 v5, 31, v[vgprSerial]                    // v5 = v[vgprSerial] % 32
_v_add_lshl_u32 v1, v5, v1, 0                      // coordination 1 = vwb *(wave_id1 + tid1)
v_mul_lo_u32 v2, v1, s[sgprStrideC1J]              //  offset 1
v_mul_lo_u32 v3, v1, s[sgprStrideD1J]              //  offset 1
v_and_b32 v0, 63, v[vgprSerial]                    // v0 = v[vgprSerial] % 64
v_lshrrev_b32 v0, 5, v0                            // v0 = v0 / 32
v_lshlrev_b32 v0, 0x2, v0                          // thread0 * continuous_output
v_and_b32 v5, 3, v4                                // v5 = v4 % 4
v_mul_lo_u32 v5, 0x20, v5                          // wave coordination offset 0
_v_add_lshl_u32 v0, v5, v0, 0                      // coordination 0 = vwa *(wave_id0 + tid0)
s_mul_i32 s31, 256, s[sgprWorkGroup0]              // wgp0 * MT0
_v_add_u32 v0, s31, v0                             // coord 0 = (tid0/MI_m)*4 + waveG0*MIB_m + MT0*SG0
s_mul_i32 s31, 256, s[sgprWorkGroup1]              // wgp1 * MT1
_v_add_u32 v1, s31, v1                             // coord 1 = (tid0%MI_m) + waveG1*MIB_n + MT1*SG1
/* Store Remap Local Write address */
v_lshrrev_b32 v5, 8, v[vgprSerial]                 // v5 = v[vgprSerial] / 256
v_and_b32 v4, 255, v[vgprSerial]                   // v4 = v[vgprSerial] % 256
v_mul_lo_u32 v13, 0x20, v5                         // coord1 offset of LDS for each Wave
v_and_b32 v5, 0x1f, v[vgprSerial]                  // coord1 offset of LDS for each thread
_v_add_u32 v5, v13, v5                             // coord1 offset in MacroTile
v_mov_b32 v11, 0x104                               // lds stride = MT0 + PAD
v_mul_lo_u32 v9, v5, v11                           // lds coord1 offset = Col-id* lds stride
v_lshrrev_b32 v10, 6, v4                           // v10 = v4 / 64
v_and_b32 v4, 63, v4                               // v4 = v4 % 64
v_lshrrev_b32 v12, 0x5, v4                         // tid / matrixInstN
v_lshlrev_b32 v12, 0x2, v12                        // lds coord0 offset *= 4 (each thread hold 4 element)
v_mad_u32_u24 v12, 32, v10, v12                    // coord0 += waveCoord0 * wave M shape(blockM*MiM)
_v_add_lshl_u32 v7, v9, v12, 0x2                   // local write C address

/* Store Remap Local Read address */
v_lshrrev_b32 v5, 6, v[vgprSerial]                 // v5 = v[vgprSerial] / 64
v_and_b32 v4, 63, v[vgprSerial]                    // v4 = v[vgprSerial] % 64
v_mul_lo_u32 v13, 0x8, v5                          // coord1 offset of LDS for each Wave
v_lshrrev_b32 v10, 0x6, v4                         // tid / nThreadPerCol
_v_add_u32 v6, v13, v10                            // coord1 offset in MacroTile
v_mul_lo_u32 v9, v6, v11                           // lds coord1 offset = Col-id* lds stride
v_and_b32 v12, 0x3f, v4                            // coord0 offset of LDS for each thread
v_lshlrev_b32 v12, 0x2, v12                        // lds coord0 offset *= gwvw (each thread hold gwvw element)
_v_add_lshl_u32 v8, v9, v12, 0x2                   // local read C address

/* Store Remap global write coord0 and coord1 */
v_lshrrev_b32 v5, 8, v[vgprSerial]                 // v5 = v[vgprSerial] / 256
v_and_b32 v4, 255, v[vgprSerial]                   // v4 = v[vgprSerial] % 256
v_mul_lo_u32 v13, 0x20, v5                         // coord1 offset of global memory for each Wave
v_lshrrev_b32 v5, 6, v4                            // v5 = v4 / 64
v_and_b32 v4, 63, v4                               // v4 = v4 % 64
v_mad_u32_u24 v13, 8, v5, v13                      // waveCoord1 += waveCoord0 * MiN / WaveGroupM
v_lshrrev_b32 v10, 0x6, v4                         // tid / nThreadPerCol
_v_add_u32 v6, v13, v10                            // coord1 offset in MacroTile
s_mul_i32 s32, 0x100, s[sgprWorkGroup0]            // s32 = wg0*MT0
_v_add_co_u32 v4, vcc, s32, v12                    // coord0 = coord0 + wg0 * MT0
s_mul_i32 s33, MT1, s[sgprWorkGroup1]              // <- wg1*MT1
_v_add_co_u32 v5, vcc, s33, v6                     // coord1 = tid1*VW + wg1*MT1

s_waitcnt lgkmcnt(0) & vmcnt(0)                    // force waitcnt0
s_barrier //StoreRemap Start
GW_B0_E0_19:

/* edge=0, allocate 2 sgpr. perBatchTmpS=2 perBatchMaskS=0 perElementMaskS=0 elementsPerBatch=8 */
/* optSingleColVgpr=1 optSharedColVgpr=0 optSGPRUsage=BufferLoad_Mask optSrdIncForRow=1 */

/******************************************/
/* Global Write Batch #0 (d1,d0,vc1,vc0) = */
/*    (0,0,0,0:vw4); (0,1,0,0:vw4); (0,2,0,0:vw4); (0,3,0,0:vw4); (0,4,0,0:vw4); (0,5,0,0:vw4); (0,6,0,0:vw4); (0,7,0,0:vw4) */
/******************************************/

/* calc coords, apply mask, and issue loads (if necessary) */
/* (d1,vc1,d0,vc0)=(0,0,0,0) */
/* (d1,vc1,d0,vc0)=(0,0,1,0) */
	;; [unrolled: 1-line block ×8, first 2 shown]
_v_add_lshl_u32 v9, v3, v0, 0x2                    // optSingleColVgpr scaleToBpe: sharedAddrVgpr <- cinRowPtr + coord0, scaled by BPE. BSHERE:coord0=0, coord0Vgpr=0
v_accvgpr_read_b32 v[vgprValuC+16], acc0 // copy acc to vreg[0]
v_accvgpr_read_b32 v[vgprValuC+17], acc1 // copy acc to vreg[1]
v_accvgpr_read_b32 v[vgprValuC+18], acc2 // copy acc to vreg[2]
v_accvgpr_read_b32 v[vgprValuC+19], acc3 // copy acc to vreg[3]
v_accvgpr_read_b32 v[vgprValuC+20], acc4 // copy acc to vreg[4]
v_accvgpr_read_b32 v[vgprValuC+21], acc5 // copy acc to vreg[5]
v_accvgpr_read_b32 v[vgprValuC+22], acc6 // copy acc to vreg[6]
v_accvgpr_read_b32 v[vgprValuC+23], acc7 // copy acc to vreg[7]
v_accvgpr_read_b32 v[vgprValuC+24], acc8 // copy acc to vreg[8]
v_accvgpr_read_b32 v[vgprValuC+25], acc9 // copy acc to vreg[9]
v_accvgpr_read_b32 v[vgprValuC+26], acc10 // copy acc to vreg[10]
v_accvgpr_read_b32 v[vgprValuC+27], acc11 // copy acc to vreg[11]
v_accvgpr_read_b32 v[vgprValuC+28], acc12 // copy acc to vreg[12]
v_accvgpr_read_b32 v[vgprValuC+29], acc13 // copy acc to vreg[13]
v_accvgpr_read_b32 v[vgprValuC+30], acc14 // copy acc to vreg[14]
v_accvgpr_read_b32 v[vgprValuC+31], acc15 // copy acc to vreg[15]
v_accvgpr_read_b32 v[vgprValuC+32], acc16 // copy acc to vreg[16]
v_accvgpr_read_b32 v[vgprValuC+33], acc17 // copy acc to vreg[17]
v_accvgpr_read_b32 v[vgprValuC+34], acc18 // copy acc to vreg[18]
v_accvgpr_read_b32 v[vgprValuC+35], acc19 // copy acc to vreg[19]
v_accvgpr_read_b32 v[vgprValuC+36], acc20 // copy acc to vreg[20]
v_accvgpr_read_b32 v[vgprValuC+37], acc21 // copy acc to vreg[21]
v_accvgpr_read_b32 v[vgprValuC+38], acc22 // copy acc to vreg[22]
v_accvgpr_read_b32 v[vgprValuC+39], acc23 // copy acc to vreg[23]
v_accvgpr_read_b32 v[vgprValuC+40], acc24 // copy acc to vreg[24]
v_accvgpr_read_b32 v[vgprValuC+41], acc25 // copy acc to vreg[25]
v_accvgpr_read_b32 v[vgprValuC+42], acc26 // copy acc to vreg[26]
v_accvgpr_read_b32 v[vgprValuC+43], acc27 // copy acc to vreg[27]
v_accvgpr_read_b32 v[vgprValuC+52], acc28 // copy acc to vreg[28]
v_accvgpr_read_b32 v[vgprValuC+53], acc29 // copy acc to vreg[29]
v_accvgpr_read_b32 v[vgprValuC+54], acc30 // copy acc to vreg[30]
v_accvgpr_read_b32 v[vgprValuC+55], acc31 // copy acc to vreg[31]
s_nop 1                                            // 2 wait states required before reading vgpr

/* apply mask, calc new C and issue writes */
_ds_store_b128 v7, v[16:19], offset:0              // storeRemap lw
_ds_store_b128 v7, v[20:23], offset:32             // storeRemap lw
_ds_store_b128 v7, v[24:27], offset:64             // storeRemap lw
	;; [unrolled: 1-line block ×3, first 2 shown]
_ds_store_b128 v7, v[32:35], offset:512            // storeRemap lw
_ds_store_b128 v7, v[36:39], offset:544            // storeRemap lw
	;; [unrolled: 1-line block ×4, first 2 shown]

/* Handle local read and global write */
s_waitcnt lgkmcnt(0)                               // wait for LDS write
s_barrier //wait all lds write finished

_ds_load_b128 v[16:19], v8, offset:0               // storeRemap lr
_ds_load_b128 v[20:23], v8, offset:1040            // storeRemap lr
_ds_load_b128 v[24:27], v8, offset:2080            // storeRemap lr
	;; [unrolled: 1-line block ×7, first 2 shown]

v_mov_b32 v13, v6                                  // coord1
v_mul_lo_u32 v13, v13, s[sgprStrideD1J]            // coord1 offset =  coord1 * StrideD
_v_add_lshl_u32 v13, v13, v4, 0x2                  // global write D address
s_waitcnt lgkmcnt(7)                               // wait for LDS read
_buffer_store_b128 v[16:19], v13, s[sgprSrdD:sgprSrdD+3], 0, offen, offset:0 // store D
_v_add_u32 v13, v6, 1                              // coord1 += nColPerLoad
v_mul_lo_u32 v13, v13, s[sgprStrideD1J]            // coord1 offset =  coord1 * StrideD
_v_add_lshl_u32 v13, v13, v4, 0x2                  // global write D address
s_waitcnt lgkmcnt(6)                               // wait for LDS read
_buffer_store_b128 v[20:23], v13, s[sgprSrdD:sgprSrdD+3], 0, offen, offset:0 // store D
_v_add_u32 v13, v6, 2                              // coord1 += nColPerLoad
v_mul_lo_u32 v13, v13, s[sgprStrideD1J]            // coord1 offset =  coord1 * StrideD
_v_add_lshl_u32 v13, v13, v4, 0x2                  // global write D address
s_waitcnt lgkmcnt(5)                               // wait for LDS read
_buffer_store_b128 v[24:27], v13, s[sgprSrdD:sgprSrdD+3], 0, offen, offset:0 // store D
_v_add_u32 v13, v6, 3                              // coord1 += nColPerLoad
v_mul_lo_u32 v13, v13, s[sgprStrideD1J]            // coord1 offset =  coord1 * StrideD
_v_add_lshl_u32 v13, v13, v4, 0x2                  // global write D address
s_waitcnt lgkmcnt(4)                               // wait for LDS read
_buffer_store_b128 v[28:31], v13, s[sgprSrdD:sgprSrdD+3], 0, offen, offset:0 // store D
_v_add_u32 v13, v6, 4                              // coord1 += nColPerLoad
v_mul_lo_u32 v13, v13, s[sgprStrideD1J]            // coord1 offset =  coord1 * StrideD
_v_add_lshl_u32 v13, v13, v4, 0x2                  // global write D address
s_waitcnt lgkmcnt(3)                               // wait for LDS read
_buffer_store_b128 v[32:35], v13, s[sgprSrdD:sgprSrdD+3], 0, offen, offset:0 // store D
_v_add_u32 v13, v6, 5                              // coord1 += nColPerLoad
v_mul_lo_u32 v13, v13, s[sgprStrideD1J]            // coord1 offset =  coord1 * StrideD
_v_add_lshl_u32 v13, v13, v4, 0x2                  // global write D address
s_waitcnt lgkmcnt(2)                               // wait for LDS read
_buffer_store_b128 v[36:39], v13, s[sgprSrdD:sgprSrdD+3], 0, offen, offset:0 // store D
_v_add_u32 v13, v6, 6                              // coord1 += nColPerLoad
v_mul_lo_u32 v13, v13, s[sgprStrideD1J]            // coord1 offset =  coord1 * StrideD
_v_add_lshl_u32 v13, v13, v4, 0x2                  // global write D address
s_waitcnt lgkmcnt(1)                               // wait for LDS read
_buffer_store_b128 v[40:43], v13, s[sgprSrdD:sgprSrdD+3], 0, offen, offset:0 // store D
_v_add_u32 v13, v6, 7                              // coord1 += nColPerLoad
v_mul_lo_u32 v13, v13, s[sgprStrideD1J]            // coord1 offset =  coord1 * StrideD
_v_add_lshl_u32 v13, v13, v4, 0x2                  // global write D address
s_waitcnt lgkmcnt(0)                               // wait for LDS read
_buffer_store_b128 v[52:55], v13, s[sgprSrdD:sgprSrdD+3], 0, offen, offset:0 // store D

s_barrier //wait all lds read finished
s_nop 0                                            // 1 wait state required when next inst writes vgprs held by previous dwordx4 store inst
/* optSingleColVgpr=1 optSharedColVgpr=0 optSGPRUsage=BufferLoad_Mask optSrdIncForRow=1 */

/******************************************/
/* Global Write Batch #1 (d1,d0,vc1,vc0) = */
/*    (1,0,0,0:vw4); (1,1,0,0:vw4); (1,2,0,0:vw4); (1,3,0,0:vw4); (1,4,0,0:vw4); (1,5,0,0:vw4); (1,6,0,0:vw4); (1,7,0,0:vw4) */
/******************************************/

/* calc coords, apply mask, and issue loads (if necessary) */
/* (d1,vc1,d0,vc0)=(1,0,0,0) */
/* (d1,vc1,d0,vc0)=(1,0,1,0) */
	;; [unrolled: 1-line block ×8, first 2 shown]
v_accvgpr_read_b32 v[vgprValuC+16], acc32 // copy acc to vreg[32]
v_accvgpr_read_b32 v[vgprValuC+17], acc33 // copy acc to vreg[33]
v_accvgpr_read_b32 v[vgprValuC+18], acc34 // copy acc to vreg[34]
v_accvgpr_read_b32 v[vgprValuC+19], acc35 // copy acc to vreg[35]
v_accvgpr_read_b32 v[vgprValuC+20], acc36 // copy acc to vreg[36]
v_accvgpr_read_b32 v[vgprValuC+21], acc37 // copy acc to vreg[37]
v_accvgpr_read_b32 v[vgprValuC+22], acc38 // copy acc to vreg[38]
v_accvgpr_read_b32 v[vgprValuC+23], acc39 // copy acc to vreg[39]
v_accvgpr_read_b32 v[vgprValuC+24], acc40 // copy acc to vreg[40]
v_accvgpr_read_b32 v[vgprValuC+25], acc41 // copy acc to vreg[41]
v_accvgpr_read_b32 v[vgprValuC+26], acc42 // copy acc to vreg[42]
v_accvgpr_read_b32 v[vgprValuC+27], acc43 // copy acc to vreg[43]
v_accvgpr_read_b32 v[vgprValuC+28], acc44 // copy acc to vreg[44]
v_accvgpr_read_b32 v[vgprValuC+29], acc45 // copy acc to vreg[45]
v_accvgpr_read_b32 v[vgprValuC+30], acc46 // copy acc to vreg[46]
v_accvgpr_read_b32 v[vgprValuC+31], acc47 // copy acc to vreg[47]
v_accvgpr_read_b32 v[vgprValuC+32], acc48 // copy acc to vreg[48]
v_accvgpr_read_b32 v[vgprValuC+33], acc49 // copy acc to vreg[49]
v_accvgpr_read_b32 v[vgprValuC+34], acc50 // copy acc to vreg[50]
v_accvgpr_read_b32 v[vgprValuC+35], acc51 // copy acc to vreg[51]
v_accvgpr_read_b32 v[vgprValuC+36], acc52 // copy acc to vreg[52]
v_accvgpr_read_b32 v[vgprValuC+37], acc53 // copy acc to vreg[53]
v_accvgpr_read_b32 v[vgprValuC+38], acc54 // copy acc to vreg[54]
v_accvgpr_read_b32 v[vgprValuC+39], acc55 // copy acc to vreg[55]
v_accvgpr_read_b32 v[vgprValuC+40], acc56 // copy acc to vreg[56]
v_accvgpr_read_b32 v[vgprValuC+41], acc57 // copy acc to vreg[57]
v_accvgpr_read_b32 v[vgprValuC+42], acc58 // copy acc to vreg[58]
v_accvgpr_read_b32 v[vgprValuC+43], acc59 // copy acc to vreg[59]
v_accvgpr_read_b32 v[vgprValuC+52], acc60 // copy acc to vreg[60]
v_accvgpr_read_b32 v[vgprValuC+53], acc61 // copy acc to vreg[61]
v_accvgpr_read_b32 v[vgprValuC+54], acc62 // copy acc to vreg[62]
v_accvgpr_read_b32 v[vgprValuC+55], acc63 // copy acc to vreg[63]
s_nop 1                                            // 2 wait states required before reading vgpr

/* apply mask, calc new C and issue writes */

/* StoreRemap: shift coord1 address */
s_mul_i32 s32, s[sgprStrideD1J], 128               // scale StrideD *= numRows(32) * bpe
s_add_u32  s[sgprSrdD+0], s[sgprSrdD+0], s32       // incToNextRow: gra SRD += inc(lower)
s_addc_u32  s[sgprSrdD+1], s[sgprSrdD+1], 0        // incToNextRow: gra SRD += inc(upper)
v_mov_b32 v10, 32                                  // set shift rows
_v_add_u32 v5, v5, v10                             // shift storeRemap coord1
_ds_store_b128 v7, v[16:19], offset:0              // storeRemap lw
_ds_store_b128 v7, v[20:23], offset:32             // storeRemap lw
_ds_store_b128 v7, v[24:27], offset:64             // storeRemap lw
	;; [unrolled: 1-line block ×3, first 2 shown]
_ds_store_b128 v7, v[32:35], offset:512            // storeRemap lw
_ds_store_b128 v7, v[36:39], offset:544            // storeRemap lw
	;; [unrolled: 1-line block ×4, first 2 shown]

/* Handle local read and global write */
s_waitcnt lgkmcnt(0)                               // wait for LDS write
s_barrier //wait all lds write finished

_ds_load_b128 v[16:19], v8, offset:0               // storeRemap lr
_ds_load_b128 v[20:23], v8, offset:1040            // storeRemap lr
_ds_load_b128 v[24:27], v8, offset:2080            // storeRemap lr
	;; [unrolled: 1-line block ×7, first 2 shown]

v_mov_b32 v13, v6                                  // coord1
v_mul_lo_u32 v13, v13, s[sgprStrideD1J]            // coord1 offset =  coord1 * StrideD
_v_add_lshl_u32 v13, v13, v4, 0x2                  // global write D address
s_waitcnt lgkmcnt(7)                               // wait for LDS read
_buffer_store_b128 v[16:19], v13, s[sgprSrdD:sgprSrdD+3], 0, offen, offset:0 // store D
_v_add_u32 v13, v6, 1                              // coord1 += nColPerLoad
v_mul_lo_u32 v13, v13, s[sgprStrideD1J]            // coord1 offset =  coord1 * StrideD
_v_add_lshl_u32 v13, v13, v4, 0x2                  // global write D address
s_waitcnt lgkmcnt(6)                               // wait for LDS read
_buffer_store_b128 v[20:23], v13, s[sgprSrdD:sgprSrdD+3], 0, offen, offset:0 // store D
_v_add_u32 v13, v6, 2                              // coord1 += nColPerLoad
	;; [unrolled: 5-line block ×7, first 2 shown]
v_mul_lo_u32 v13, v13, s[sgprStrideD1J]            // coord1 offset =  coord1 * StrideD
_v_add_lshl_u32 v13, v13, v4, 0x2                  // global write D address
s_waitcnt lgkmcnt(0)                               // wait for LDS read
_buffer_store_b128 v[52:55], v13, s[sgprSrdD:sgprSrdD+3], 0, offen, offset:0 // store D

s_barrier //wait all lds read finished
s_nop 0                                            // 1 wait state required when next inst writes vgprs held by previous dwordx4 store inst
/* optSingleColVgpr=1 optSharedColVgpr=0 optSGPRUsage=BufferLoad_Mask optSrdIncForRow=1 */

/******************************************/
/* Global Write Batch #2 (d1,d0,vc1,vc0) = */
/*    (2,0,0,0:vw4); (2,1,0,0:vw4); (2,2,0,0:vw4); (2,3,0,0:vw4); (2,4,0,0:vw4); (2,5,0,0:vw4); (2,6,0,0:vw4); (2,7,0,0:vw4) */
/******************************************/

/* calc coords, apply mask, and issue loads (if necessary) */
/* (d1,vc1,d0,vc0)=(2,0,0,0) */
/* (d1,vc1,d0,vc0)=(2,0,1,0) */
	;; [unrolled: 1-line block ×8, first 2 shown]
v_accvgpr_read_b32 v[vgprValuC+16], acc64 // copy acc to vreg[64]
v_accvgpr_read_b32 v[vgprValuC+17], acc65 // copy acc to vreg[65]
v_accvgpr_read_b32 v[vgprValuC+18], acc66 // copy acc to vreg[66]
v_accvgpr_read_b32 v[vgprValuC+19], acc67 // copy acc to vreg[67]
v_accvgpr_read_b32 v[vgprValuC+20], acc68 // copy acc to vreg[68]
v_accvgpr_read_b32 v[vgprValuC+21], acc69 // copy acc to vreg[69]
v_accvgpr_read_b32 v[vgprValuC+22], acc70 // copy acc to vreg[70]
v_accvgpr_read_b32 v[vgprValuC+23], acc71 // copy acc to vreg[71]
v_accvgpr_read_b32 v[vgprValuC+24], acc72 // copy acc to vreg[72]
v_accvgpr_read_b32 v[vgprValuC+25], acc73 // copy acc to vreg[73]
v_accvgpr_read_b32 v[vgprValuC+26], acc74 // copy acc to vreg[74]
v_accvgpr_read_b32 v[vgprValuC+27], acc75 // copy acc to vreg[75]
v_accvgpr_read_b32 v[vgprValuC+28], acc76 // copy acc to vreg[76]
v_accvgpr_read_b32 v[vgprValuC+29], acc77 // copy acc to vreg[77]
v_accvgpr_read_b32 v[vgprValuC+30], acc78 // copy acc to vreg[78]
v_accvgpr_read_b32 v[vgprValuC+31], acc79 // copy acc to vreg[79]
v_accvgpr_read_b32 v[vgprValuC+32], acc80 // copy acc to vreg[80]
v_accvgpr_read_b32 v[vgprValuC+33], acc81 // copy acc to vreg[81]
v_accvgpr_read_b32 v[vgprValuC+34], acc82 // copy acc to vreg[82]
v_accvgpr_read_b32 v[vgprValuC+35], acc83 // copy acc to vreg[83]
v_accvgpr_read_b32 v[vgprValuC+36], acc84 // copy acc to vreg[84]
v_accvgpr_read_b32 v[vgprValuC+37], acc85 // copy acc to vreg[85]
v_accvgpr_read_b32 v[vgprValuC+38], acc86 // copy acc to vreg[86]
v_accvgpr_read_b32 v[vgprValuC+39], acc87 // copy acc to vreg[87]
v_accvgpr_read_b32 v[vgprValuC+40], acc88 // copy acc to vreg[88]
v_accvgpr_read_b32 v[vgprValuC+41], acc89 // copy acc to vreg[89]
v_accvgpr_read_b32 v[vgprValuC+42], acc90 // copy acc to vreg[90]
v_accvgpr_read_b32 v[vgprValuC+43], acc91 // copy acc to vreg[91]
v_accvgpr_read_b32 v[vgprValuC+52], acc92 // copy acc to vreg[92]
v_accvgpr_read_b32 v[vgprValuC+53], acc93 // copy acc to vreg[93]
v_accvgpr_read_b32 v[vgprValuC+54], acc94 // copy acc to vreg[94]
v_accvgpr_read_b32 v[vgprValuC+55], acc95 // copy acc to vreg[95]
s_nop 1                                            // 2 wait states required before reading vgpr

/* apply mask, calc new C and issue writes */

/* StoreRemap: shift coord1 address */
s_mul_i32 s32, s[sgprStrideD1J], 128               // scale StrideD *= numRows(32) * bpe
s_add_u32  s[sgprSrdD+0], s[sgprSrdD+0], s32       // incToNextRow: gra SRD += inc(lower)
s_addc_u32  s[sgprSrdD+1], s[sgprSrdD+1], 0        // incToNextRow: gra SRD += inc(upper)
v_mov_b32 v10, 32                                  // set shift rows
_v_add_u32 v5, v5, v10                             // shift storeRemap coord1
_ds_store_b128 v7, v[16:19], offset:0              // storeRemap lw
_ds_store_b128 v7, v[20:23], offset:32             // storeRemap lw
_ds_store_b128 v7, v[24:27], offset:64             // storeRemap lw
	;; [unrolled: 1-line block ×3, first 2 shown]
_ds_store_b128 v7, v[32:35], offset:512            // storeRemap lw
_ds_store_b128 v7, v[36:39], offset:544            // storeRemap lw
	;; [unrolled: 1-line block ×4, first 2 shown]

/* Handle local read and global write */
s_waitcnt lgkmcnt(0)                               // wait for LDS write
s_barrier //wait all lds write finished

_ds_load_b128 v[16:19], v8, offset:0               // storeRemap lr
_ds_load_b128 v[20:23], v8, offset:1040            // storeRemap lr
_ds_load_b128 v[24:27], v8, offset:2080            // storeRemap lr
	;; [unrolled: 1-line block ×7, first 2 shown]

v_mov_b32 v13, v6                                  // coord1
v_mul_lo_u32 v13, v13, s[sgprStrideD1J]            // coord1 offset =  coord1 * StrideD
_v_add_lshl_u32 v13, v13, v4, 0x2                  // global write D address
s_waitcnt lgkmcnt(7)                               // wait for LDS read
_buffer_store_b128 v[16:19], v13, s[sgprSrdD:sgprSrdD+3], 0, offen, offset:0 // store D
_v_add_u32 v13, v6, 1                              // coord1 += nColPerLoad
v_mul_lo_u32 v13, v13, s[sgprStrideD1J]            // coord1 offset =  coord1 * StrideD
_v_add_lshl_u32 v13, v13, v4, 0x2                  // global write D address
s_waitcnt lgkmcnt(6)                               // wait for LDS read
_buffer_store_b128 v[20:23], v13, s[sgprSrdD:sgprSrdD+3], 0, offen, offset:0 // store D
_v_add_u32 v13, v6, 2                              // coord1 += nColPerLoad
	;; [unrolled: 5-line block ×7, first 2 shown]
v_mul_lo_u32 v13, v13, s[sgprStrideD1J]            // coord1 offset =  coord1 * StrideD
_v_add_lshl_u32 v13, v13, v4, 0x2                  // global write D address
s_waitcnt lgkmcnt(0)                               // wait for LDS read
_buffer_store_b128 v[52:55], v13, s[sgprSrdD:sgprSrdD+3], 0, offen, offset:0 // store D

s_barrier //wait all lds read finished
s_nop 0                                            // 1 wait state required when next inst writes vgprs held by previous dwordx4 store inst
/* optSingleColVgpr=1 optSharedColVgpr=0 optSGPRUsage=BufferLoad_Mask optSrdIncForRow=1 */

/******************************************/
/* Global Write Batch #3 (d1,d0,vc1,vc0) = */
/*    (3,0,0,0:vw4); (3,1,0,0:vw4); (3,2,0,0:vw4); (3,3,0,0:vw4); (3,4,0,0:vw4); (3,5,0,0:vw4); (3,6,0,0:vw4); (3,7,0,0:vw4) */
/******************************************/

/* calc coords, apply mask, and issue loads (if necessary) */
/* (d1,vc1,d0,vc0)=(3,0,0,0) */
/* (d1,vc1,d0,vc0)=(3,0,1,0) */
	;; [unrolled: 1-line block ×8, first 2 shown]
v_accvgpr_read_b32 v[vgprValuC+16], acc96 // copy acc to vreg[96]
v_accvgpr_read_b32 v[vgprValuC+17], acc97 // copy acc to vreg[97]
v_accvgpr_read_b32 v[vgprValuC+18], acc98 // copy acc to vreg[98]
v_accvgpr_read_b32 v[vgprValuC+19], acc99 // copy acc to vreg[99]
v_accvgpr_read_b32 v[vgprValuC+20], acc100 // copy acc to vreg[100]
v_accvgpr_read_b32 v[vgprValuC+21], acc101 // copy acc to vreg[101]
v_accvgpr_read_b32 v[vgprValuC+22], acc102 // copy acc to vreg[102]
v_accvgpr_read_b32 v[vgprValuC+23], acc103 // copy acc to vreg[103]
v_accvgpr_read_b32 v[vgprValuC+24], acc104 // copy acc to vreg[104]
v_accvgpr_read_b32 v[vgprValuC+25], acc105 // copy acc to vreg[105]
v_accvgpr_read_b32 v[vgprValuC+26], acc106 // copy acc to vreg[106]
v_accvgpr_read_b32 v[vgprValuC+27], acc107 // copy acc to vreg[107]
v_accvgpr_read_b32 v[vgprValuC+28], acc108 // copy acc to vreg[108]
v_accvgpr_read_b32 v[vgprValuC+29], acc109 // copy acc to vreg[109]
v_accvgpr_read_b32 v[vgprValuC+30], acc110 // copy acc to vreg[110]
v_accvgpr_read_b32 v[vgprValuC+31], acc111 // copy acc to vreg[111]
v_accvgpr_read_b32 v[vgprValuC+32], acc112 // copy acc to vreg[112]
v_accvgpr_read_b32 v[vgprValuC+33], acc113 // copy acc to vreg[113]
v_accvgpr_read_b32 v[vgprValuC+34], acc114 // copy acc to vreg[114]
v_accvgpr_read_b32 v[vgprValuC+35], acc115 // copy acc to vreg[115]
v_accvgpr_read_b32 v[vgprValuC+36], acc116 // copy acc to vreg[116]
v_accvgpr_read_b32 v[vgprValuC+37], acc117 // copy acc to vreg[117]
v_accvgpr_read_b32 v[vgprValuC+38], acc118 // copy acc to vreg[118]
v_accvgpr_read_b32 v[vgprValuC+39], acc119 // copy acc to vreg[119]
v_accvgpr_read_b32 v[vgprValuC+40], acc120 // copy acc to vreg[120]
v_accvgpr_read_b32 v[vgprValuC+41], acc121 // copy acc to vreg[121]
v_accvgpr_read_b32 v[vgprValuC+42], acc122 // copy acc to vreg[122]
v_accvgpr_read_b32 v[vgprValuC+43], acc123 // copy acc to vreg[123]
v_accvgpr_read_b32 v[vgprValuC+52], acc124 // copy acc to vreg[124]
v_accvgpr_read_b32 v[vgprValuC+53], acc125 // copy acc to vreg[125]
v_accvgpr_read_b32 v[vgprValuC+54], acc126 // copy acc to vreg[126]
v_accvgpr_read_b32 v[vgprValuC+55], acc127 // copy acc to vreg[127]
s_nop 1                                            // 2 wait states required before reading vgpr

/* apply mask, calc new C and issue writes */

/* StoreRemap: shift coord1 address */
s_mul_i32 s32, s[sgprStrideD1J], 128               // scale StrideD *= numRows(32) * bpe
s_add_u32  s[sgprSrdD+0], s[sgprSrdD+0], s32       // incToNextRow: gra SRD += inc(lower)
s_addc_u32  s[sgprSrdD+1], s[sgprSrdD+1], 0        // incToNextRow: gra SRD += inc(upper)
v_mov_b32 v10, 32                                  // set shift rows
_v_add_u32 v5, v5, v10                             // shift storeRemap coord1
_ds_store_b128 v7, v[16:19], offset:0              // storeRemap lw
_ds_store_b128 v7, v[20:23], offset:32             // storeRemap lw
_ds_store_b128 v7, v[24:27], offset:64             // storeRemap lw
	;; [unrolled: 1-line block ×3, first 2 shown]
_ds_store_b128 v7, v[32:35], offset:512            // storeRemap lw
_ds_store_b128 v7, v[36:39], offset:544            // storeRemap lw
	;; [unrolled: 1-line block ×4, first 2 shown]

/* Handle local read and global write */
s_waitcnt lgkmcnt(0)                               // wait for LDS write
s_barrier //wait all lds write finished

_ds_load_b128 v[16:19], v8, offset:0               // storeRemap lr
_ds_load_b128 v[20:23], v8, offset:1040            // storeRemap lr
_ds_load_b128 v[24:27], v8, offset:2080            // storeRemap lr
	;; [unrolled: 1-line block ×7, first 2 shown]

v_mov_b32 v13, v6                                  // coord1
v_mul_lo_u32 v13, v13, s[sgprStrideD1J]            // coord1 offset =  coord1 * StrideD
_v_add_lshl_u32 v13, v13, v4, 0x2                  // global write D address
s_waitcnt lgkmcnt(7)                               // wait for LDS read
_buffer_store_b128 v[16:19], v13, s[sgprSrdD:sgprSrdD+3], 0, offen, offset:0 // store D
_v_add_u32 v13, v6, 1                              // coord1 += nColPerLoad
v_mul_lo_u32 v13, v13, s[sgprStrideD1J]            // coord1 offset =  coord1 * StrideD
_v_add_lshl_u32 v13, v13, v4, 0x2                  // global write D address
s_waitcnt lgkmcnt(6)                               // wait for LDS read
_buffer_store_b128 v[20:23], v13, s[sgprSrdD:sgprSrdD+3], 0, offen, offset:0 // store D
_v_add_u32 v13, v6, 2                              // coord1 += nColPerLoad
	;; [unrolled: 5-line block ×7, first 2 shown]
v_mul_lo_u32 v13, v13, s[sgprStrideD1J]            // coord1 offset =  coord1 * StrideD
_v_add_lshl_u32 v13, v13, v4, 0x2                  // global write D address
s_waitcnt lgkmcnt(0)                               // wait for LDS read
_buffer_store_b128 v[52:55], v13, s[sgprSrdD:sgprSrdD+3], 0, offen, offset:0 // store D

s_barrier //wait all lds read finished
s_nop 0                                            // 1 wait state required when next inst writes vgprs held by previous dwordx4 store inst
/* optSingleColVgpr=1 optSharedColVgpr=0 optSGPRUsage=BufferLoad_Mask optSrdIncForRow=1 */

/******************************************/
/* Global Write Batch #4 (d1,d0,vc1,vc0) = */
/*    (4,0,0,0:vw4); (4,1,0,0:vw4); (4,2,0,0:vw4); (4,3,0,0:vw4); (4,4,0,0:vw4); (4,5,0,0:vw4); (4,6,0,0:vw4); (4,7,0,0:vw4) */
/******************************************/

/* calc coords, apply mask, and issue loads (if necessary) */
/* (d1,vc1,d0,vc0)=(4,0,0,0) */
/* (d1,vc1,d0,vc0)=(4,0,1,0) */
	;; [unrolled: 1-line block ×8, first 2 shown]
v_accvgpr_read_b32 v[vgprValuC+16], acc128 // copy acc to vreg[128]
v_accvgpr_read_b32 v[vgprValuC+17], acc129 // copy acc to vreg[129]
v_accvgpr_read_b32 v[vgprValuC+18], acc130 // copy acc to vreg[130]
v_accvgpr_read_b32 v[vgprValuC+19], acc131 // copy acc to vreg[131]
v_accvgpr_read_b32 v[vgprValuC+20], acc132 // copy acc to vreg[132]
v_accvgpr_read_b32 v[vgprValuC+21], acc133 // copy acc to vreg[133]
v_accvgpr_read_b32 v[vgprValuC+22], acc134 // copy acc to vreg[134]
v_accvgpr_read_b32 v[vgprValuC+23], acc135 // copy acc to vreg[135]
v_accvgpr_read_b32 v[vgprValuC+24], acc136 // copy acc to vreg[136]
v_accvgpr_read_b32 v[vgprValuC+25], acc137 // copy acc to vreg[137]
v_accvgpr_read_b32 v[vgprValuC+26], acc138 // copy acc to vreg[138]
v_accvgpr_read_b32 v[vgprValuC+27], acc139 // copy acc to vreg[139]
v_accvgpr_read_b32 v[vgprValuC+28], acc140 // copy acc to vreg[140]
v_accvgpr_read_b32 v[vgprValuC+29], acc141 // copy acc to vreg[141]
v_accvgpr_read_b32 v[vgprValuC+30], acc142 // copy acc to vreg[142]
v_accvgpr_read_b32 v[vgprValuC+31], acc143 // copy acc to vreg[143]
v_accvgpr_read_b32 v[vgprValuC+32], acc144 // copy acc to vreg[144]
v_accvgpr_read_b32 v[vgprValuC+33], acc145 // copy acc to vreg[145]
v_accvgpr_read_b32 v[vgprValuC+34], acc146 // copy acc to vreg[146]
v_accvgpr_read_b32 v[vgprValuC+35], acc147 // copy acc to vreg[147]
v_accvgpr_read_b32 v[vgprValuC+36], acc148 // copy acc to vreg[148]
v_accvgpr_read_b32 v[vgprValuC+37], acc149 // copy acc to vreg[149]
v_accvgpr_read_b32 v[vgprValuC+38], acc150 // copy acc to vreg[150]
v_accvgpr_read_b32 v[vgprValuC+39], acc151 // copy acc to vreg[151]
v_accvgpr_read_b32 v[vgprValuC+40], acc152 // copy acc to vreg[152]
v_accvgpr_read_b32 v[vgprValuC+41], acc153 // copy acc to vreg[153]
v_accvgpr_read_b32 v[vgprValuC+42], acc154 // copy acc to vreg[154]
v_accvgpr_read_b32 v[vgprValuC+43], acc155 // copy acc to vreg[155]
v_accvgpr_read_b32 v[vgprValuC+52], acc156 // copy acc to vreg[156]
v_accvgpr_read_b32 v[vgprValuC+53], acc157 // copy acc to vreg[157]
v_accvgpr_read_b32 v[vgprValuC+54], acc158 // copy acc to vreg[158]
v_accvgpr_read_b32 v[vgprValuC+55], acc159 // copy acc to vreg[159]
s_nop 1                                            // 2 wait states required before reading vgpr

/* apply mask, calc new C and issue writes */

/* StoreRemap: shift coord1 address */
s_mul_i32 s32, s[sgprStrideD1J], 128               // scale StrideD *= numRows(32) * bpe
s_add_u32  s[sgprSrdD+0], s[sgprSrdD+0], s32       // incToNextRow: gra SRD += inc(lower)
s_addc_u32  s[sgprSrdD+1], s[sgprSrdD+1], 0        // incToNextRow: gra SRD += inc(upper)
v_mov_b32 v10, 32                                  // set shift rows
_v_add_u32 v5, v5, v10                             // shift storeRemap coord1
_ds_store_b128 v7, v[16:19], offset:0              // storeRemap lw
_ds_store_b128 v7, v[20:23], offset:32             // storeRemap lw
_ds_store_b128 v7, v[24:27], offset:64             // storeRemap lw
	;; [unrolled: 1-line block ×3, first 2 shown]
_ds_store_b128 v7, v[32:35], offset:512            // storeRemap lw
_ds_store_b128 v7, v[36:39], offset:544            // storeRemap lw
	;; [unrolled: 1-line block ×4, first 2 shown]

/* Handle local read and global write */
s_waitcnt lgkmcnt(0)                               // wait for LDS write
s_barrier //wait all lds write finished

_ds_load_b128 v[16:19], v8, offset:0               // storeRemap lr
_ds_load_b128 v[20:23], v8, offset:1040            // storeRemap lr
_ds_load_b128 v[24:27], v8, offset:2080            // storeRemap lr
	;; [unrolled: 1-line block ×7, first 2 shown]

v_mov_b32 v13, v6                                  // coord1
v_mul_lo_u32 v13, v13, s[sgprStrideD1J]            // coord1 offset =  coord1 * StrideD
_v_add_lshl_u32 v13, v13, v4, 0x2                  // global write D address
s_waitcnt lgkmcnt(7)                               // wait for LDS read
_buffer_store_b128 v[16:19], v13, s[sgprSrdD:sgprSrdD+3], 0, offen, offset:0 // store D
_v_add_u32 v13, v6, 1                              // coord1 += nColPerLoad
v_mul_lo_u32 v13, v13, s[sgprStrideD1J]            // coord1 offset =  coord1 * StrideD
_v_add_lshl_u32 v13, v13, v4, 0x2                  // global write D address
s_waitcnt lgkmcnt(6)                               // wait for LDS read
_buffer_store_b128 v[20:23], v13, s[sgprSrdD:sgprSrdD+3], 0, offen, offset:0 // store D
_v_add_u32 v13, v6, 2                              // coord1 += nColPerLoad
	;; [unrolled: 5-line block ×7, first 2 shown]
v_mul_lo_u32 v13, v13, s[sgprStrideD1J]            // coord1 offset =  coord1 * StrideD
_v_add_lshl_u32 v13, v13, v4, 0x2                  // global write D address
s_waitcnt lgkmcnt(0)                               // wait for LDS read
_buffer_store_b128 v[52:55], v13, s[sgprSrdD:sgprSrdD+3], 0, offen, offset:0 // store D

s_barrier //wait all lds read finished
s_nop 0                                            // 1 wait state required when next inst writes vgprs held by previous dwordx4 store inst
/* optSingleColVgpr=1 optSharedColVgpr=0 optSGPRUsage=BufferLoad_Mask optSrdIncForRow=1 */

/******************************************/
/* Global Write Batch #5 (d1,d0,vc1,vc0) = */
/*    (5,0,0,0:vw4); (5,1,0,0:vw4); (5,2,0,0:vw4); (5,3,0,0:vw4); (5,4,0,0:vw4); (5,5,0,0:vw4); (5,6,0,0:vw4); (5,7,0,0:vw4) */
/******************************************/

/* calc coords, apply mask, and issue loads (if necessary) */
/* (d1,vc1,d0,vc0)=(5,0,0,0) */
/* (d1,vc1,d0,vc0)=(5,0,1,0) */
	;; [unrolled: 1-line block ×8, first 2 shown]
v_accvgpr_read_b32 v[vgprValuC+16], acc160 // copy acc to vreg[160]
v_accvgpr_read_b32 v[vgprValuC+17], acc161 // copy acc to vreg[161]
v_accvgpr_read_b32 v[vgprValuC+18], acc162 // copy acc to vreg[162]
v_accvgpr_read_b32 v[vgprValuC+19], acc163 // copy acc to vreg[163]
v_accvgpr_read_b32 v[vgprValuC+20], acc164 // copy acc to vreg[164]
v_accvgpr_read_b32 v[vgprValuC+21], acc165 // copy acc to vreg[165]
v_accvgpr_read_b32 v[vgprValuC+22], acc166 // copy acc to vreg[166]
v_accvgpr_read_b32 v[vgprValuC+23], acc167 // copy acc to vreg[167]
v_accvgpr_read_b32 v[vgprValuC+24], acc168 // copy acc to vreg[168]
v_accvgpr_read_b32 v[vgprValuC+25], acc169 // copy acc to vreg[169]
v_accvgpr_read_b32 v[vgprValuC+26], acc170 // copy acc to vreg[170]
v_accvgpr_read_b32 v[vgprValuC+27], acc171 // copy acc to vreg[171]
v_accvgpr_read_b32 v[vgprValuC+28], acc172 // copy acc to vreg[172]
v_accvgpr_read_b32 v[vgprValuC+29], acc173 // copy acc to vreg[173]
v_accvgpr_read_b32 v[vgprValuC+30], acc174 // copy acc to vreg[174]
v_accvgpr_read_b32 v[vgprValuC+31], acc175 // copy acc to vreg[175]
v_accvgpr_read_b32 v[vgprValuC+32], acc176 // copy acc to vreg[176]
v_accvgpr_read_b32 v[vgprValuC+33], acc177 // copy acc to vreg[177]
v_accvgpr_read_b32 v[vgprValuC+34], acc178 // copy acc to vreg[178]
v_accvgpr_read_b32 v[vgprValuC+35], acc179 // copy acc to vreg[179]
v_accvgpr_read_b32 v[vgprValuC+36], acc180 // copy acc to vreg[180]
v_accvgpr_read_b32 v[vgprValuC+37], acc181 // copy acc to vreg[181]
v_accvgpr_read_b32 v[vgprValuC+38], acc182 // copy acc to vreg[182]
v_accvgpr_read_b32 v[vgprValuC+39], acc183 // copy acc to vreg[183]
v_accvgpr_read_b32 v[vgprValuC+40], acc184 // copy acc to vreg[184]
v_accvgpr_read_b32 v[vgprValuC+41], acc185 // copy acc to vreg[185]
v_accvgpr_read_b32 v[vgprValuC+42], acc186 // copy acc to vreg[186]
v_accvgpr_read_b32 v[vgprValuC+43], acc187 // copy acc to vreg[187]
v_accvgpr_read_b32 v[vgprValuC+52], acc188 // copy acc to vreg[188]
v_accvgpr_read_b32 v[vgprValuC+53], acc189 // copy acc to vreg[189]
v_accvgpr_read_b32 v[vgprValuC+54], acc190 // copy acc to vreg[190]
v_accvgpr_read_b32 v[vgprValuC+55], acc191 // copy acc to vreg[191]
s_nop 1                                            // 2 wait states required before reading vgpr

/* apply mask, calc new C and issue writes */

/* StoreRemap: shift coord1 address */
s_mul_i32 s32, s[sgprStrideD1J], 128               // scale StrideD *= numRows(32) * bpe
s_add_u32  s[sgprSrdD+0], s[sgprSrdD+0], s32       // incToNextRow: gra SRD += inc(lower)
s_addc_u32  s[sgprSrdD+1], s[sgprSrdD+1], 0        // incToNextRow: gra SRD += inc(upper)
v_mov_b32 v10, 32                                  // set shift rows
_v_add_u32 v5, v5, v10                             // shift storeRemap coord1
_ds_store_b128 v7, v[16:19], offset:0              // storeRemap lw
_ds_store_b128 v7, v[20:23], offset:32             // storeRemap lw
_ds_store_b128 v7, v[24:27], offset:64             // storeRemap lw
	;; [unrolled: 1-line block ×3, first 2 shown]
_ds_store_b128 v7, v[32:35], offset:512            // storeRemap lw
_ds_store_b128 v7, v[36:39], offset:544            // storeRemap lw
	;; [unrolled: 1-line block ×4, first 2 shown]

/* Handle local read and global write */
s_waitcnt lgkmcnt(0)                               // wait for LDS write
s_barrier //wait all lds write finished

_ds_load_b128 v[16:19], v8, offset:0               // storeRemap lr
_ds_load_b128 v[20:23], v8, offset:1040            // storeRemap lr
_ds_load_b128 v[24:27], v8, offset:2080            // storeRemap lr
	;; [unrolled: 1-line block ×7, first 2 shown]

v_mov_b32 v13, v6                                  // coord1
v_mul_lo_u32 v13, v13, s[sgprStrideD1J]            // coord1 offset =  coord1 * StrideD
_v_add_lshl_u32 v13, v13, v4, 0x2                  // global write D address
s_waitcnt lgkmcnt(7)                               // wait for LDS read
_buffer_store_b128 v[16:19], v13, s[sgprSrdD:sgprSrdD+3], 0, offen, offset:0 // store D
_v_add_u32 v13, v6, 1                              // coord1 += nColPerLoad
v_mul_lo_u32 v13, v13, s[sgprStrideD1J]            // coord1 offset =  coord1 * StrideD
_v_add_lshl_u32 v13, v13, v4, 0x2                  // global write D address
s_waitcnt lgkmcnt(6)                               // wait for LDS read
_buffer_store_b128 v[20:23], v13, s[sgprSrdD:sgprSrdD+3], 0, offen, offset:0 // store D
_v_add_u32 v13, v6, 2                              // coord1 += nColPerLoad
	;; [unrolled: 5-line block ×7, first 2 shown]
v_mul_lo_u32 v13, v13, s[sgprStrideD1J]            // coord1 offset =  coord1 * StrideD
_v_add_lshl_u32 v13, v13, v4, 0x2                  // global write D address
s_waitcnt lgkmcnt(0)                               // wait for LDS read
_buffer_store_b128 v[52:55], v13, s[sgprSrdD:sgprSrdD+3], 0, offen, offset:0 // store D

s_barrier //wait all lds read finished
s_nop 0                                            // 1 wait state required when next inst writes vgprs held by previous dwordx4 store inst
/* optSingleColVgpr=1 optSharedColVgpr=0 optSGPRUsage=BufferLoad_Mask optSrdIncForRow=1 */

/******************************************/
/* Global Write Batch #6 (d1,d0,vc1,vc0) = */
/*    (6,0,0,0:vw4); (6,1,0,0:vw4); (6,2,0,0:vw4); (6,3,0,0:vw4); (6,4,0,0:vw4); (6,5,0,0:vw4); (6,6,0,0:vw4); (6,7,0,0:vw4) */
/******************************************/

/* calc coords, apply mask, and issue loads (if necessary) */
/* (d1,vc1,d0,vc0)=(6,0,0,0) */
/* (d1,vc1,d0,vc0)=(6,0,1,0) */
	;; [unrolled: 1-line block ×8, first 2 shown]
v_accvgpr_read_b32 v[vgprValuC+16], acc192 // copy acc to vreg[192]
v_accvgpr_read_b32 v[vgprValuC+17], acc193 // copy acc to vreg[193]
v_accvgpr_read_b32 v[vgprValuC+18], acc194 // copy acc to vreg[194]
v_accvgpr_read_b32 v[vgprValuC+19], acc195 // copy acc to vreg[195]
v_accvgpr_read_b32 v[vgprValuC+20], acc196 // copy acc to vreg[196]
v_accvgpr_read_b32 v[vgprValuC+21], acc197 // copy acc to vreg[197]
v_accvgpr_read_b32 v[vgprValuC+22], acc198 // copy acc to vreg[198]
v_accvgpr_read_b32 v[vgprValuC+23], acc199 // copy acc to vreg[199]
v_accvgpr_read_b32 v[vgprValuC+24], acc200 // copy acc to vreg[200]
v_accvgpr_read_b32 v[vgprValuC+25], acc201 // copy acc to vreg[201]
v_accvgpr_read_b32 v[vgprValuC+26], acc202 // copy acc to vreg[202]
v_accvgpr_read_b32 v[vgprValuC+27], acc203 // copy acc to vreg[203]
v_accvgpr_read_b32 v[vgprValuC+28], acc204 // copy acc to vreg[204]
v_accvgpr_read_b32 v[vgprValuC+29], acc205 // copy acc to vreg[205]
v_accvgpr_read_b32 v[vgprValuC+30], acc206 // copy acc to vreg[206]
v_accvgpr_read_b32 v[vgprValuC+31], acc207 // copy acc to vreg[207]
v_accvgpr_read_b32 v[vgprValuC+32], acc208 // copy acc to vreg[208]
v_accvgpr_read_b32 v[vgprValuC+33], acc209 // copy acc to vreg[209]
v_accvgpr_read_b32 v[vgprValuC+34], acc210 // copy acc to vreg[210]
v_accvgpr_read_b32 v[vgprValuC+35], acc211 // copy acc to vreg[211]
v_accvgpr_read_b32 v[vgprValuC+36], acc212 // copy acc to vreg[212]
v_accvgpr_read_b32 v[vgprValuC+37], acc213 // copy acc to vreg[213]
v_accvgpr_read_b32 v[vgprValuC+38], acc214 // copy acc to vreg[214]
v_accvgpr_read_b32 v[vgprValuC+39], acc215 // copy acc to vreg[215]
v_accvgpr_read_b32 v[vgprValuC+40], acc216 // copy acc to vreg[216]
v_accvgpr_read_b32 v[vgprValuC+41], acc217 // copy acc to vreg[217]
v_accvgpr_read_b32 v[vgprValuC+42], acc218 // copy acc to vreg[218]
v_accvgpr_read_b32 v[vgprValuC+43], acc219 // copy acc to vreg[219]
v_accvgpr_read_b32 v[vgprValuC+52], acc220 // copy acc to vreg[220]
v_accvgpr_read_b32 v[vgprValuC+53], acc221 // copy acc to vreg[221]
v_accvgpr_read_b32 v[vgprValuC+54], acc222 // copy acc to vreg[222]
v_accvgpr_read_b32 v[vgprValuC+55], acc223 // copy acc to vreg[223]
s_nop 1                                            // 2 wait states required before reading vgpr

/* apply mask, calc new C and issue writes */

/* StoreRemap: shift coord1 address */
s_mul_i32 s32, s[sgprStrideD1J], 128               // scale StrideD *= numRows(32) * bpe
s_add_u32  s[sgprSrdD+0], s[sgprSrdD+0], s32       // incToNextRow: gra SRD += inc(lower)
s_addc_u32  s[sgprSrdD+1], s[sgprSrdD+1], 0        // incToNextRow: gra SRD += inc(upper)
v_mov_b32 v10, 32                                  // set shift rows
_v_add_u32 v5, v5, v10                             // shift storeRemap coord1
_ds_store_b128 v7, v[16:19], offset:0              // storeRemap lw
_ds_store_b128 v7, v[20:23], offset:32             // storeRemap lw
_ds_store_b128 v7, v[24:27], offset:64             // storeRemap lw
	;; [unrolled: 1-line block ×3, first 2 shown]
_ds_store_b128 v7, v[32:35], offset:512            // storeRemap lw
_ds_store_b128 v7, v[36:39], offset:544            // storeRemap lw
	;; [unrolled: 1-line block ×4, first 2 shown]

/* Handle local read and global write */
s_waitcnt lgkmcnt(0)                               // wait for LDS write
s_barrier //wait all lds write finished

_ds_load_b128 v[16:19], v8, offset:0               // storeRemap lr
_ds_load_b128 v[20:23], v8, offset:1040            // storeRemap lr
_ds_load_b128 v[24:27], v8, offset:2080            // storeRemap lr
	;; [unrolled: 1-line block ×7, first 2 shown]

v_mov_b32 v13, v6                                  // coord1
v_mul_lo_u32 v13, v13, s[sgprStrideD1J]            // coord1 offset =  coord1 * StrideD
_v_add_lshl_u32 v13, v13, v4, 0x2                  // global write D address
s_waitcnt lgkmcnt(7)                               // wait for LDS read
_buffer_store_b128 v[16:19], v13, s[sgprSrdD:sgprSrdD+3], 0, offen, offset:0 // store D
_v_add_u32 v13, v6, 1                              // coord1 += nColPerLoad
v_mul_lo_u32 v13, v13, s[sgprStrideD1J]            // coord1 offset =  coord1 * StrideD
_v_add_lshl_u32 v13, v13, v4, 0x2                  // global write D address
s_waitcnt lgkmcnt(6)                               // wait for LDS read
_buffer_store_b128 v[20:23], v13, s[sgprSrdD:sgprSrdD+3], 0, offen, offset:0 // store D
_v_add_u32 v13, v6, 2                              // coord1 += nColPerLoad
	;; [unrolled: 5-line block ×7, first 2 shown]
v_mul_lo_u32 v13, v13, s[sgprStrideD1J]            // coord1 offset =  coord1 * StrideD
_v_add_lshl_u32 v13, v13, v4, 0x2                  // global write D address
s_waitcnt lgkmcnt(0)                               // wait for LDS read
_buffer_store_b128 v[52:55], v13, s[sgprSrdD:sgprSrdD+3], 0, offen, offset:0 // store D

s_barrier //wait all lds read finished
s_nop 0                                            // 1 wait state required when next inst writes vgprs held by previous dwordx4 store inst
/* optSingleColVgpr=1 optSharedColVgpr=0 optSGPRUsage=BufferLoad_Mask optSrdIncForRow=1 */

/******************************************/
/* Global Write Batch #7 (d1,d0,vc1,vc0) = */
/*    (7,0,0,0:vw4); (7,1,0,0:vw4); (7,2,0,0:vw4); (7,3,0,0:vw4); (7,4,0,0:vw4); (7,5,0,0:vw4); (7,6,0,0:vw4); (7,7,0,0:vw4) */
/******************************************/

/* calc coords, apply mask, and issue loads (if necessary) */
/* (d1,vc1,d0,vc0)=(7,0,0,0) */
/* (d1,vc1,d0,vc0)=(7,0,1,0) */
	;; [unrolled: 1-line block ×8, first 2 shown]
v_accvgpr_read_b32 v[vgprValuC+16], acc224 // copy acc to vreg[224]
v_accvgpr_read_b32 v[vgprValuC+17], acc225 // copy acc to vreg[225]
v_accvgpr_read_b32 v[vgprValuC+18], acc226 // copy acc to vreg[226]
v_accvgpr_read_b32 v[vgprValuC+19], acc227 // copy acc to vreg[227]
v_accvgpr_read_b32 v[vgprValuC+20], acc228 // copy acc to vreg[228]
v_accvgpr_read_b32 v[vgprValuC+21], acc229 // copy acc to vreg[229]
v_accvgpr_read_b32 v[vgprValuC+22], acc230 // copy acc to vreg[230]
v_accvgpr_read_b32 v[vgprValuC+23], acc231 // copy acc to vreg[231]
v_accvgpr_read_b32 v[vgprValuC+24], acc232 // copy acc to vreg[232]
v_accvgpr_read_b32 v[vgprValuC+25], acc233 // copy acc to vreg[233]
v_accvgpr_read_b32 v[vgprValuC+26], acc234 // copy acc to vreg[234]
v_accvgpr_read_b32 v[vgprValuC+27], acc235 // copy acc to vreg[235]
v_accvgpr_read_b32 v[vgprValuC+28], acc236 // copy acc to vreg[236]
v_accvgpr_read_b32 v[vgprValuC+29], acc237 // copy acc to vreg[237]
v_accvgpr_read_b32 v[vgprValuC+30], acc238 // copy acc to vreg[238]
v_accvgpr_read_b32 v[vgprValuC+31], acc239 // copy acc to vreg[239]
v_accvgpr_read_b32 v[vgprValuC+32], acc240 // copy acc to vreg[240]
v_accvgpr_read_b32 v[vgprValuC+33], acc241 // copy acc to vreg[241]
v_accvgpr_read_b32 v[vgprValuC+34], acc242 // copy acc to vreg[242]
v_accvgpr_read_b32 v[vgprValuC+35], acc243 // copy acc to vreg[243]
v_accvgpr_read_b32 v[vgprValuC+36], acc244 // copy acc to vreg[244]
v_accvgpr_read_b32 v[vgprValuC+37], acc245 // copy acc to vreg[245]
v_accvgpr_read_b32 v[vgprValuC+38], acc246 // copy acc to vreg[246]
v_accvgpr_read_b32 v[vgprValuC+39], acc247 // copy acc to vreg[247]
v_accvgpr_read_b32 v[vgprValuC+40], acc248 // copy acc to vreg[248]
v_accvgpr_read_b32 v[vgprValuC+41], acc249 // copy acc to vreg[249]
v_accvgpr_read_b32 v[vgprValuC+42], acc250 // copy acc to vreg[250]
v_accvgpr_read_b32 v[vgprValuC+43], acc251 // copy acc to vreg[251]
v_accvgpr_read_b32 v[vgprValuC+52], acc252 // copy acc to vreg[252]
v_accvgpr_read_b32 v[vgprValuC+53], acc253 // copy acc to vreg[253]
v_accvgpr_read_b32 v[vgprValuC+54], acc254 // copy acc to vreg[254]
v_accvgpr_read_b32 v[vgprValuC+55], acc255 // copy acc to vreg[255]
s_nop 1                                            // 2 wait states required before reading vgpr

/* apply mask, calc new C and issue writes */

/* StoreRemap: shift coord1 address */
s_mul_i32 s32, s[sgprStrideD1J], 128               // scale StrideD *= numRows(32) * bpe
s_add_u32  s[sgprSrdD+0], s[sgprSrdD+0], s32       // incToNextRow: gra SRD += inc(lower)
s_addc_u32  s[sgprSrdD+1], s[sgprSrdD+1], 0        // incToNextRow: gra SRD += inc(upper)
v_mov_b32 v10, 32                                  // set shift rows
_v_add_u32 v5, v5, v10                             // shift storeRemap coord1
_ds_store_b128 v7, v[16:19], offset:0              // storeRemap lw
_ds_store_b128 v7, v[20:23], offset:32             // storeRemap lw
_ds_store_b128 v7, v[24:27], offset:64             // storeRemap lw
	;; [unrolled: 1-line block ×3, first 2 shown]
_ds_store_b128 v7, v[32:35], offset:512            // storeRemap lw
_ds_store_b128 v7, v[36:39], offset:544            // storeRemap lw
	;; [unrolled: 1-line block ×4, first 2 shown]

/* Handle local read and global write */
s_waitcnt lgkmcnt(0)                               // wait for LDS write
s_barrier //wait all lds write finished

_ds_load_b128 v[16:19], v8, offset:0               // storeRemap lr
_ds_load_b128 v[20:23], v8, offset:1040            // storeRemap lr
_ds_load_b128 v[24:27], v8, offset:2080            // storeRemap lr
	;; [unrolled: 1-line block ×7, first 2 shown]

v_mov_b32 v13, v6                                  // coord1
v_mul_lo_u32 v13, v13, s[sgprStrideD1J]            // coord1 offset =  coord1 * StrideD
_v_add_lshl_u32 v13, v13, v4, 0x2                  // global write D address
s_waitcnt lgkmcnt(7)                               // wait for LDS read
_buffer_store_b128 v[16:19], v13, s[sgprSrdD:sgprSrdD+3], 0, offen, offset:0 // store D
_v_add_u32 v13, v6, 1                              // coord1 += nColPerLoad
v_mul_lo_u32 v13, v13, s[sgprStrideD1J]            // coord1 offset =  coord1 * StrideD
_v_add_lshl_u32 v13, v13, v4, 0x2                  // global write D address
s_waitcnt lgkmcnt(6)                               // wait for LDS read
_buffer_store_b128 v[20:23], v13, s[sgprSrdD:sgprSrdD+3], 0, offen, offset:0 // store D
_v_add_u32 v13, v6, 2                              // coord1 += nColPerLoad
	;; [unrolled: 5-line block ×7, first 2 shown]
v_mul_lo_u32 v13, v13, s[sgprStrideD1J]            // coord1 offset =  coord1 * StrideD
_v_add_lshl_u32 v13, v13, v4, 0x2                  // global write D address
s_waitcnt lgkmcnt(0)                               // wait for LDS read
_buffer_store_b128 v[52:55], v13, s[sgprSrdD:sgprSrdD+3], 0, offen, offset:0 // store D

s_barrier //wait all lds read finished
s_nop 0                                            // 1 wait state required when next inst writes vgprs held by previous dwordx4 store inst
s_branch label_GW_End_21                           // jump to end
label_GW_End_21:

s_endpgm                                           // Kernel End
OptNLL_End_15:


/******************************************/
/* Ord. NoLoadLoop - Begin                                      */
/******************************************/


	;; [unrolled: 1-line block ×4, first 2 shown]
/* iter 0 (last unrolled loop) */

/*  grEndMfmaIndex:0, lwStartMfmaIndex:54, lwEndMfmaIndex:54  */
/*  numMfmaForLR:7, barrierMfmaIndex:56 */
/*  mfmaIndex:0  */
s_waitcnt lgkmcnt(0)                               // lgkmcnt=0 vmcnt=-1wait for prior local read local write old=0, new=0 newLW=0 newLR=0
/* pack scheduling: packAIdx:3, packBIdx:3 */
_v_lshl_or_b32 v[vgprValuA_X0_I0+0], v49, 0x8, v[vgprValuA_X0_I0+0] // pack two int8 Vgpr to one half Vgpr
_v_lshl_or_b32 v50, v51, 0x8, v50                  // pack two int8 Vgpr to one half Vgpr
v_or_b32 v[vgprValuA_X0_I0+0], v[vgprValuA_X0_I0+0], v50 // pack two half Vgpr to one Vgpr
_v_lshl_or_b32 v[vgprValuB_X0_I0+0], v55, 0x8, v[vgprValuB_X0_I0+0] // pack two int8 Vgpr to one half Vgpr
_v_lshl_or_b32 v56, v57, 0x8, v56                  // pack two int8 Vgpr to one half Vgpr
v_or_b32 v[vgprValuB_X0_I0+0], v[vgprValuB_X0_I0+0], v56 // pack two half Vgpr to one Vgpr
_v_lshl_or_b32 v[vgprValuA_X0_I0+1], v52, 0x8, v[vgprValuA_X0_I0+1] // pack two int8 Vgpr to one half Vgpr
_v_lshl_or_b32 v53, v54, 0x8, v53                  // pack two int8 Vgpr to one half Vgpr
v_or_b32 v[vgprValuA_X0_I0+1], v[vgprValuA_X0_I0+1], v53 // pack two half Vgpr to one Vgpr
v_mfma_i32_32x32x8i8 a[0+0:15+0], v[vgprValuA_X0_I0+0+0+0], v[vgprValuB_X0_I0+0+0+0], a[0:15]
/*  mfmaIndex:1  */
_ds_load_u8 v[vgprValuA_X1_I0+0], v[vgprLocalReadAddrA] offset:2048 // L -> Reg lro=2048 swapByteOffset=0 ti=128 vIdx=0 rIdx=0 oIdx=0 buffer=1 iui=0
_ds_load_u8 v79, v[vgprLocalReadAddrA] offset:2304 // L -> Reg lro=2048 swapByteOffset=0 ti=128 vIdx=0 rIdx=1 oIdx=0 buffer=1 iui=0
_ds_load_u8_d16_hi v80, v[vgprLocalReadAddrA] offset:2560 // L -> Reg lro=2048 swapByteOffset=0 ti=128 vIdx=0 rIdx=2 oIdx=0 buffer=1 iui=0
_ds_load_u8_d16_hi v81, v[vgprLocalReadAddrA] offset:2816 // L -> Reg lro=2048 swapByteOffset=0 ti=128 vIdx=0 rIdx=3 oIdx=0 buffer=1 iui=0
_ds_load_u8 v[vgprValuB_X1_I0+0], v[vgprLocalReadAddrB] offset:2048 // L -> Reg lro=2048 swapByteOffset=0 ti=32 vIdx=0 rIdx=0 oIdx=0 buffer=1 iui=0
_ds_load_u8 v85, v[vgprLocalReadAddrB] offset:2304 // L -> Reg lro=2048 swapByteOffset=0 ti=32 vIdx=0 rIdx=1 oIdx=0 buffer=1 iui=0
/* pack scheduling: packAIdx:6, packBIdx:3 */
_v_lshl_or_b32 v[vgprValuB_X0_I0+1], v58, 0x8, v[vgprValuB_X0_I0+1] // pack two int8 Vgpr to one half Vgpr
_v_lshl_or_b32 v59, v60, 0x8, v59                  // pack two int8 Vgpr to one half Vgpr
v_or_b32 v[vgprValuB_X0_I0+1], v[vgprValuB_X0_I0+1], v59 // pack two half Vgpr to one Vgpr
_v_lshl_or_b32 v[vgprValuB_X0_I0+2], v61, 0x8, v[vgprValuB_X0_I0+2] // pack two int8 Vgpr to one half Vgpr
_v_lshl_or_b32 v62, v63, 0x8, v62                  // pack two int8 Vgpr to one half Vgpr
v_or_b32 v[vgprValuB_X0_I0+2], v[vgprValuB_X0_I0+2], v62 // pack two half Vgpr to one Vgpr
v_mfma_i32_32x32x8i8 a[16+0:31+0], v[vgprValuA_X0_I0+1+0+0], v[vgprValuB_X0_I0+0+0+0], a[16:31]
/*  mfmaIndex:2  */
_ds_load_u8_d16_hi v86, v[vgprLocalReadAddrB] offset:2560 // L -> Reg lro=2048 swapByteOffset=0 ti=32 vIdx=0 rIdx=2 oIdx=0 buffer=1 iui=0
_ds_load_u8_d16_hi v87, v[vgprLocalReadAddrB] offset:2816 // L -> Reg lro=2048 swapByteOffset=0 ti=32 vIdx=0 rIdx=3 oIdx=0 buffer=1 iui=0
_ds_load_u8 v[vgprValuA_X1_I0+1], v[vgprLocalReadAddrA] offset:2176 // L -> Reg lro=2048 swapByteOffset=0 ti=128 vIdx=1 rIdx=0 oIdx=0 buffer=1 iui=0
_ds_load_u8 v82, v[vgprLocalReadAddrA] offset:2432 // L -> Reg lro=2048 swapByteOffset=0 ti=128 vIdx=1 rIdx=1 oIdx=0 buffer=1 iui=0
_ds_load_u8_d16_hi v83, v[vgprLocalReadAddrA] offset:2688 // L -> Reg lro=2048 swapByteOffset=0 ti=128 vIdx=1 rIdx=2 oIdx=0 buffer=1 iui=0
_ds_load_u8_d16_hi v84, v[vgprLocalReadAddrA] offset:2944 // L -> Reg lro=2048 swapByteOffset=0 ti=128 vIdx=1 rIdx=3 oIdx=0 buffer=1 iui=0
/* pack scheduling: packAIdx:6, packBIdx:6 */
_v_lshl_or_b32 v[vgprValuB_X0_I0+3], v64, 0x8, v[vgprValuB_X0_I0+3] // pack two int8 Vgpr to one half Vgpr
_v_lshl_or_b32 v65, v66, 0x8, v65                  // pack two int8 Vgpr to one half Vgpr
v_or_b32 v[vgprValuB_X0_I0+3], v[vgprValuB_X0_I0+3], v65 // pack two half Vgpr to one Vgpr
_v_lshl_or_b32 v[vgprValuB_X0_I0+4], v67, 0x8, v[vgprValuB_X0_I0+4] // pack two int8 Vgpr to one half Vgpr
_v_lshl_or_b32 v68, v69, 0x8, v68                  // pack two int8 Vgpr to one half Vgpr
v_or_b32 v[vgprValuB_X0_I0+4], v[vgprValuB_X0_I0+4], v68 // pack two half Vgpr to one Vgpr
v_mfma_i32_32x32x8i8 a[48+0:63+0], v[vgprValuA_X0_I0+1+0+0], v[vgprValuB_X0_I0+1+0+0], a[48:63]
/*  mfmaIndex:3  */
_ds_load_u8 v[vgprValuB_X1_I0+1], v[vgprLocalReadAddrB] offset:2080 // L -> Reg lro=2048 swapByteOffset=0 ti=32 vIdx=1 rIdx=0 oIdx=0 buffer=1 iui=0
_ds_load_u8 v88, v[vgprLocalReadAddrB] offset:2336 // L -> Reg lro=2048 swapByteOffset=0 ti=32 vIdx=1 rIdx=1 oIdx=0 buffer=1 iui=0
_ds_load_u8_d16_hi v89, v[vgprLocalReadAddrB] offset:2592 // L -> Reg lro=2048 swapByteOffset=0 ti=32 vIdx=1 rIdx=2 oIdx=0 buffer=1 iui=0
_ds_load_u8_d16_hi v90, v[vgprLocalReadAddrB] offset:2848 // L -> Reg lro=2048 swapByteOffset=0 ti=32 vIdx=1 rIdx=3 oIdx=0 buffer=1 iui=0
_ds_load_u8 v[vgprValuB_X1_I0+2], v[vgprLocalReadAddrB] offset:2112 // L -> Reg lro=2048 swapByteOffset=0 ti=32 vIdx=2 rIdx=0 oIdx=0 buffer=1 iui=0
_ds_load_u8 v91, v[vgprLocalReadAddrB] offset:2368 // L -> Reg lro=2048 swapByteOffset=0 ti=32 vIdx=2 rIdx=1 oIdx=0 buffer=1 iui=0
/* pack scheduling: packAIdx:6, packBIdx:6 */
_v_lshl_or_b32 v[vgprValuB_X0_I0+5], v70, 0x8, v[vgprValuB_X0_I0+5] // pack two int8 Vgpr to one half Vgpr
_v_lshl_or_b32 v71, v72, 0x8, v71                  // pack two int8 Vgpr to one half Vgpr
v_or_b32 v[vgprValuB_X0_I0+5], v[vgprValuB_X0_I0+5], v71 // pack two half Vgpr to one Vgpr
_v_lshl_or_b32 v[vgprValuB_X0_I0+6], v73, 0x8, v[vgprValuB_X0_I0+6] // pack two int8 Vgpr to one half Vgpr
_v_lshl_or_b32 v74, v75, 0x8, v74                  // pack two int8 Vgpr to one half Vgpr
v_or_b32 v[vgprValuB_X0_I0+6], v[vgprValuB_X0_I0+6], v74 // pack two half Vgpr to one Vgpr
v_mfma_i32_32x32x8i8 a[32+0:47+0], v[vgprValuA_X0_I0+0+0+0], v[vgprValuB_X0_I0+1+0+0], a[32:47]
/*  mfmaIndex:4  */
_ds_load_u8_d16_hi v92, v[vgprLocalReadAddrB] offset:2624 // L -> Reg lro=2048 swapByteOffset=0 ti=32 vIdx=2 rIdx=2 oIdx=0 buffer=1 iui=0
_ds_load_u8_d16_hi v93, v[vgprLocalReadAddrB] offset:2880 // L -> Reg lro=2048 swapByteOffset=0 ti=32 vIdx=2 rIdx=3 oIdx=0 buffer=1 iui=0
_ds_load_u8 v[vgprValuB_X1_I0+3], v[vgprLocalReadAddrB] offset:2144 // L -> Reg lro=2048 swapByteOffset=0 ti=32 vIdx=3 rIdx=0 oIdx=0 buffer=1 iui=0
_ds_load_u8 v94, v[vgprLocalReadAddrB] offset:2400 // L -> Reg lro=2048 swapByteOffset=0 ti=32 vIdx=3 rIdx=1 oIdx=0 buffer=1 iui=0
_ds_load_u8_d16_hi v95, v[vgprLocalReadAddrB] offset:2656 // L -> Reg lro=2048 swapByteOffset=0 ti=32 vIdx=3 rIdx=2 oIdx=0 buffer=1 iui=0
_ds_load_u8_d16_hi v96, v[vgprLocalReadAddrB] offset:2912 // L -> Reg lro=2048 swapByteOffset=0 ti=32 vIdx=3 rIdx=3 oIdx=0 buffer=1 iui=0
/* pack scheduling: packAIdx:6, packBIdx:9 */
_v_lshl_or_b32 v[vgprValuB_X0_I0+7], v76, 0x8, v[vgprValuB_X0_I0+7] // pack two int8 Vgpr to one half Vgpr
_v_lshl_or_b32 v77, v78, 0x8, v77                  // pack two int8 Vgpr to one half Vgpr
v_or_b32 v[vgprValuB_X0_I0+7], v[vgprValuB_X0_I0+7], v77 // pack two half Vgpr to one Vgpr
v_mfma_i32_32x32x8i8 a[64+0:79+0], v[vgprValuA_X0_I0+0+0+0], v[vgprValuB_X0_I0+2+0+0], a[64:79]
/*  mfmaIndex:5  */
_ds_load_u8 v[vgprValuB_X1_I0+4], v[vgprLocalReadAddrB] offset:2176 // L -> Reg lro=2048 swapByteOffset=0 ti=32 vIdx=4 rIdx=0 oIdx=0 buffer=1 iui=0
_ds_load_u8 v97, v[vgprLocalReadAddrB] offset:2432 // L -> Reg lro=2048 swapByteOffset=0 ti=32 vIdx=4 rIdx=1 oIdx=0 buffer=1 iui=0
_ds_load_u8_d16_hi v98, v[vgprLocalReadAddrB] offset:2688 // L -> Reg lro=2048 swapByteOffset=0 ti=32 vIdx=4 rIdx=2 oIdx=0 buffer=1 iui=0
_ds_load_u8_d16_hi v99, v[vgprLocalReadAddrB] offset:2944 // L -> Reg lro=2048 swapByteOffset=0 ti=32 vIdx=4 rIdx=3 oIdx=0 buffer=1 iui=0
_ds_load_u8 v[vgprValuB_X1_I0+5], v[vgprLocalReadAddrB] offset:2208 // L -> Reg lro=2048 swapByteOffset=0 ti=32 vIdx=5 rIdx=0 oIdx=0 buffer=1 iui=0
_ds_load_u8 v100, v[vgprLocalReadAddrB] offset:2464 // L -> Reg lro=2048 swapByteOffset=0 ti=32 vIdx=5 rIdx=1 oIdx=0 buffer=1 iui=0
v_mfma_i32_32x32x8i8 a[80+0:95+0], v[vgprValuA_X0_I0+1+0+0], v[vgprValuB_X0_I0+2+0+0], a[80:95]
/*  mfmaIndex:6  */
_ds_load_u8_d16_hi v101, v[vgprLocalReadAddrB] offset:2720 // L -> Reg lro=2048 swapByteOffset=0 ti=32 vIdx=5 rIdx=2 oIdx=0 buffer=1 iui=0
_ds_load_u8_d16_hi v102, v[vgprLocalReadAddrB] offset:2976 // L -> Reg lro=2048 swapByteOffset=0 ti=32 vIdx=5 rIdx=3 oIdx=0 buffer=1 iui=0
_ds_load_u8 v[vgprValuB_X1_I0+6], v[vgprLocalReadAddrB] offset:2240 // L -> Reg lro=2048 swapByteOffset=0 ti=32 vIdx=6 rIdx=0 oIdx=0 buffer=1 iui=0
_ds_load_u8 v103, v[vgprLocalReadAddrB] offset:2496 // L -> Reg lro=2048 swapByteOffset=0 ti=32 vIdx=6 rIdx=1 oIdx=0 buffer=1 iui=0
_ds_load_u8_d16_hi v104, v[vgprLocalReadAddrB] offset:2752 // L -> Reg lro=2048 swapByteOffset=0 ti=32 vIdx=6 rIdx=2 oIdx=0 buffer=1 iui=0
_ds_load_u8_d16_hi v105, v[vgprLocalReadAddrB] offset:3008 // L -> Reg lro=2048 swapByteOffset=0 ti=32 vIdx=6 rIdx=3 oIdx=0 buffer=1 iui=0
v_mfma_i32_32x32x8i8 a[112+0:127+0], v[vgprValuA_X0_I0+1+0+0], v[vgprValuB_X0_I0+3+0+0], a[112:127]
/*  mfmaIndex:7  */
_ds_load_u8 v[vgprValuB_X1_I0+7], v[vgprLocalReadAddrB] offset:2272 // L -> Reg lro=2048 swapByteOffset=0 ti=32 vIdx=7 rIdx=0 oIdx=0 buffer=1 iui=0
_ds_load_u8 v106, v[vgprLocalReadAddrB] offset:2528 // L -> Reg lro=2048 swapByteOffset=0 ti=32 vIdx=7 rIdx=1 oIdx=0 buffer=1 iui=0
_ds_load_u8_d16_hi v107, v[vgprLocalReadAddrB] offset:2784 // L -> Reg lro=2048 swapByteOffset=0 ti=32 vIdx=7 rIdx=2 oIdx=0 buffer=1 iui=0
_ds_load_u8_d16_hi v108, v[vgprLocalReadAddrB] offset:3040 // L -> Reg lro=2048 swapByteOffset=0 ti=32 vIdx=7 rIdx=3 oIdx=0 buffer=1 iui=0
/* localReadsVacancy: latencyLeft 5 */
v_mfma_i32_32x32x8i8 a[96+0:111+0], v[vgprValuA_X0_I0+0+0+0], v[vgprValuB_X0_I0+3+0+0], a[96:111]
/*  mfmaIndex:8  */
/* localReadsVacancy: latencyLeft 13 */
v_mfma_i32_32x32x8i8 a[128+0:143+0], v[vgprValuA_X0_I0+0+0+0], v[vgprValuB_X0_I0+4+0+0], a[128:143]
/*  mfmaIndex:9  */
	;; [unrolled: 3-line block ×8, first 2 shown]
/* localReadsVacancy: latencyLeft 13 */
v_mfma_i32_32x32x8i8 a[224+0:239+0], v[vgprValuA_X0_I0+0+0+0], v[vgprValuB_X0_I0+7+0+0], a[224:239]
/* numPrefetchIter=0 */
/* dataAtIterA=-1 numReadsIterA=1 skipReadsIterA=1 readsPerIterA=8 */
/* dataAtIterB=-1 numReadsIterB=1 skipReadsIterB=1 readsPerIterB=32 */


/* iter 1 (last unrolled loop) */

/*  grEndMfmaIndex:0, lwStartMfmaIndex:54, lwEndMfmaIndex:54  */
/*  numMfmaForLR:7, barrierMfmaIndex:56 */
/*  mfmaIndex:16  */
_ds_load_u8 v[vgprValuA_X0_I0+0], v[vgprLocalReadAddrA] offset:4096 // L -> Reg lro=4096 swapByteOffset=0 ti=128 vIdx=0 rIdx=0 oIdx=0 buffer=0 iui=0
_ds_load_u8 v49, v[vgprLocalReadAddrA] offset:4352 // L -> Reg lro=4096 swapByteOffset=0 ti=128 vIdx=0 rIdx=1 oIdx=0 buffer=0 iui=0
_ds_load_u8_d16_hi v50, v[vgprLocalReadAddrA] offset:4608 // L -> Reg lro=4096 swapByteOffset=0 ti=128 vIdx=0 rIdx=2 oIdx=0 buffer=0 iui=0
_ds_load_u8_d16_hi v51, v[vgprLocalReadAddrA] offset:4864 // L -> Reg lro=4096 swapByteOffset=0 ti=128 vIdx=0 rIdx=3 oIdx=0 buffer=0 iui=0
_ds_load_u8 v[vgprValuB_X0_I0+0], v[vgprLocalReadAddrB] offset:4096 // L -> Reg lro=4096 swapByteOffset=0 ti=32 vIdx=0 rIdx=0 oIdx=0 buffer=0 iui=0
_ds_load_u8 v55, v[vgprLocalReadAddrB] offset:4352 // L -> Reg lro=4096 swapByteOffset=0 ti=32 vIdx=0 rIdx=1 oIdx=0 buffer=0 iui=0
s_waitcnt lgkmcnt(6)                               // lgkmcnt=0 vmcnt=-1wait for prior local read local write old=0, new=6 newLW=0 newLR=6
/* pack scheduling: packAIdx:3, packBIdx:3 */
_v_lshl_or_b32 v[vgprValuA_X1_I0+0], v79, 0x8, v[vgprValuA_X1_I0+0] // pack two int8 Vgpr to one half Vgpr
_v_lshl_or_b32 v80, v81, 0x8, v80                  // pack two int8 Vgpr to one half Vgpr
v_or_b32 v[vgprValuA_X1_I0+0], v[vgprValuA_X1_I0+0], v80 // pack two half Vgpr to one Vgpr
_v_lshl_or_b32 v[vgprValuB_X1_I0+0], v85, 0x8, v[vgprValuB_X1_I0+0] // pack two int8 Vgpr to one half Vgpr
_v_lshl_or_b32 v86, v87, 0x8, v86                  // pack two int8 Vgpr to one half Vgpr
v_or_b32 v[vgprValuB_X1_I0+0], v[vgprValuB_X1_I0+0], v86 // pack two half Vgpr to one Vgpr
_v_lshl_or_b32 v[vgprValuA_X1_I0+1], v82, 0x8, v[vgprValuA_X1_I0+1] // pack two int8 Vgpr to one half Vgpr
_v_lshl_or_b32 v83, v84, 0x8, v83                  // pack two int8 Vgpr to one half Vgpr
v_or_b32 v[vgprValuA_X1_I0+1], v[vgprValuA_X1_I0+1], v83 // pack two half Vgpr to one Vgpr
v_mfma_i32_32x32x8i8 a[0+0:15+0], v[vgprValuA_X1_I0+0+0+0], v[vgprValuB_X1_I0+0+0+0], a[0:15]
/*  mfmaIndex:17  */
_ds_load_u8_d16_hi v56, v[vgprLocalReadAddrB] offset:4608 // L -> Reg lro=4096 swapByteOffset=0 ti=32 vIdx=0 rIdx=2 oIdx=0 buffer=0 iui=0
_ds_load_u8_d16_hi v57, v[vgprLocalReadAddrB] offset:4864 // L -> Reg lro=4096 swapByteOffset=0 ti=32 vIdx=0 rIdx=3 oIdx=0 buffer=0 iui=0
_ds_load_u8 v[vgprValuA_X0_I0+1], v[vgprLocalReadAddrA] offset:4224 // L -> Reg lro=4096 swapByteOffset=0 ti=128 vIdx=1 rIdx=0 oIdx=0 buffer=0 iui=0
_ds_load_u8 v52, v[vgprLocalReadAddrA] offset:4480 // L -> Reg lro=4096 swapByteOffset=0 ti=128 vIdx=1 rIdx=1 oIdx=0 buffer=0 iui=0
_ds_load_u8_d16_hi v53, v[vgprLocalReadAddrA] offset:4736 // L -> Reg lro=4096 swapByteOffset=0 ti=128 vIdx=1 rIdx=2 oIdx=0 buffer=0 iui=0
_ds_load_u8_d16_hi v54, v[vgprLocalReadAddrA] offset:4992 // L -> Reg lro=4096 swapByteOffset=0 ti=128 vIdx=1 rIdx=3 oIdx=0 buffer=0 iui=0
/* pack scheduling: packAIdx:6, packBIdx:3 */
_v_lshl_or_b32 v[vgprValuB_X1_I0+1], v88, 0x8, v[vgprValuB_X1_I0+1] // pack two int8 Vgpr to one half Vgpr
_v_lshl_or_b32 v89, v90, 0x8, v89                  // pack two int8 Vgpr to one half Vgpr
v_or_b32 v[vgprValuB_X1_I0+1], v[vgprValuB_X1_I0+1], v89 // pack two half Vgpr to one Vgpr
_v_lshl_or_b32 v[vgprValuB_X1_I0+2], v91, 0x8, v[vgprValuB_X1_I0+2] // pack two int8 Vgpr to one half Vgpr
_v_lshl_or_b32 v92, v93, 0x8, v92                  // pack two int8 Vgpr to one half Vgpr
v_or_b32 v[vgprValuB_X1_I0+2], v[vgprValuB_X1_I0+2], v92 // pack two half Vgpr to one Vgpr
v_mfma_i32_32x32x8i8 a[16+0:31+0], v[vgprValuA_X1_I0+1+0+0], v[vgprValuB_X1_I0+0+0+0], a[16:31]
/*  mfmaIndex:18  */
_ds_load_u8 v[vgprValuB_X0_I0+1], v[vgprLocalReadAddrB] offset:4128 // L -> Reg lro=4096 swapByteOffset=0 ti=32 vIdx=1 rIdx=0 oIdx=0 buffer=0 iui=0
_ds_load_u8 v58, v[vgprLocalReadAddrB] offset:4384 // L -> Reg lro=4096 swapByteOffset=0 ti=32 vIdx=1 rIdx=1 oIdx=0 buffer=0 iui=0
_ds_load_u8_d16_hi v59, v[vgprLocalReadAddrB] offset:4640 // L -> Reg lro=4096 swapByteOffset=0 ti=32 vIdx=1 rIdx=2 oIdx=0 buffer=0 iui=0
_ds_load_u8_d16_hi v60, v[vgprLocalReadAddrB] offset:4896 // L -> Reg lro=4096 swapByteOffset=0 ti=32 vIdx=1 rIdx=3 oIdx=0 buffer=0 iui=0
_ds_load_u8 v[vgprValuB_X0_I0+2], v[vgprLocalReadAddrB] offset:4160 // L -> Reg lro=4096 swapByteOffset=0 ti=32 vIdx=2 rIdx=0 oIdx=0 buffer=0 iui=0
_ds_load_u8 v61, v[vgprLocalReadAddrB] offset:4416 // L -> Reg lro=4096 swapByteOffset=0 ti=32 vIdx=2 rIdx=1 oIdx=0 buffer=0 iui=0
/* pack scheduling: packAIdx:6, packBIdx:6 */
_v_lshl_or_b32 v[vgprValuB_X1_I0+3], v94, 0x8, v[vgprValuB_X1_I0+3] // pack two int8 Vgpr to one half Vgpr
_v_lshl_or_b32 v95, v96, 0x8, v95                  // pack two int8 Vgpr to one half Vgpr
v_or_b32 v[vgprValuB_X1_I0+3], v[vgprValuB_X1_I0+3], v95 // pack two half Vgpr to one Vgpr
_v_lshl_or_b32 v[vgprValuB_X1_I0+4], v97, 0x8, v[vgprValuB_X1_I0+4] // pack two int8 Vgpr to one half Vgpr
_v_lshl_or_b32 v98, v99, 0x8, v98                  // pack two int8 Vgpr to one half Vgpr
v_or_b32 v[vgprValuB_X1_I0+4], v[vgprValuB_X1_I0+4], v98 // pack two half Vgpr to one Vgpr
v_mfma_i32_32x32x8i8 a[48+0:63+0], v[vgprValuA_X1_I0+1+0+0], v[vgprValuB_X1_I0+1+0+0], a[48:63]
/*  mfmaIndex:19  */
_ds_load_u8_d16_hi v62, v[vgprLocalReadAddrB] offset:4672 // L -> Reg lro=4096 swapByteOffset=0 ti=32 vIdx=2 rIdx=2 oIdx=0 buffer=0 iui=0
_ds_load_u8_d16_hi v63, v[vgprLocalReadAddrB] offset:4928 // L -> Reg lro=4096 swapByteOffset=0 ti=32 vIdx=2 rIdx=3 oIdx=0 buffer=0 iui=0
_ds_load_u8 v[vgprValuB_X0_I0+3], v[vgprLocalReadAddrB] offset:4192 // L -> Reg lro=4096 swapByteOffset=0 ti=32 vIdx=3 rIdx=0 oIdx=0 buffer=0 iui=0
_ds_load_u8 v64, v[vgprLocalReadAddrB] offset:4448 // L -> Reg lro=4096 swapByteOffset=0 ti=32 vIdx=3 rIdx=1 oIdx=0 buffer=0 iui=0
_ds_load_u8_d16_hi v65, v[vgprLocalReadAddrB] offset:4704 // L -> Reg lro=4096 swapByteOffset=0 ti=32 vIdx=3 rIdx=2 oIdx=0 buffer=0 iui=0
_ds_load_u8_d16_hi v66, v[vgprLocalReadAddrB] offset:4960 // L -> Reg lro=4096 swapByteOffset=0 ti=32 vIdx=3 rIdx=3 oIdx=0 buffer=0 iui=0
/* pack scheduling: packAIdx:6, packBIdx:6 */
_v_lshl_or_b32 v[vgprValuB_X1_I0+5], v100, 0x8, v[vgprValuB_X1_I0+5] // pack two int8 Vgpr to one half Vgpr
_v_lshl_or_b32 v101, v102, 0x8, v101               // pack two int8 Vgpr to one half Vgpr
v_or_b32 v[vgprValuB_X1_I0+5], v[vgprValuB_X1_I0+5], v101 // pack two half Vgpr to one Vgpr
_v_lshl_or_b32 v[vgprValuB_X1_I0+6], v103, 0x8, v[vgprValuB_X1_I0+6] // pack two int8 Vgpr to one half Vgpr
_v_lshl_or_b32 v104, v105, 0x8, v104               // pack two int8 Vgpr to one half Vgpr
v_or_b32 v[vgprValuB_X1_I0+6], v[vgprValuB_X1_I0+6], v104 // pack two half Vgpr to one Vgpr
v_mfma_i32_32x32x8i8 a[32+0:47+0], v[vgprValuA_X1_I0+0+0+0], v[vgprValuB_X1_I0+1+0+0], a[32:47]
/*  mfmaIndex:20  */
_ds_load_u8 v[vgprValuB_X0_I0+4], v[vgprLocalReadAddrB] offset:4224 // L -> Reg lro=4096 swapByteOffset=0 ti=32 vIdx=4 rIdx=0 oIdx=0 buffer=0 iui=0
_ds_load_u8 v67, v[vgprLocalReadAddrB] offset:4480 // L -> Reg lro=4096 swapByteOffset=0 ti=32 vIdx=4 rIdx=1 oIdx=0 buffer=0 iui=0
_ds_load_u8_d16_hi v68, v[vgprLocalReadAddrB] offset:4736 // L -> Reg lro=4096 swapByteOffset=0 ti=32 vIdx=4 rIdx=2 oIdx=0 buffer=0 iui=0
_ds_load_u8_d16_hi v69, v[vgprLocalReadAddrB] offset:4992 // L -> Reg lro=4096 swapByteOffset=0 ti=32 vIdx=4 rIdx=3 oIdx=0 buffer=0 iui=0
_ds_load_u8 v[vgprValuB_X0_I0+5], v[vgprLocalReadAddrB] offset:4256 // L -> Reg lro=4096 swapByteOffset=0 ti=32 vIdx=5 rIdx=0 oIdx=0 buffer=0 iui=0
_ds_load_u8 v70, v[vgprLocalReadAddrB] offset:4512 // L -> Reg lro=4096 swapByteOffset=0 ti=32 vIdx=5 rIdx=1 oIdx=0 buffer=0 iui=0
/* pack scheduling: packAIdx:6, packBIdx:9 */
_v_lshl_or_b32 v[vgprValuB_X1_I0+7], v106, 0x8, v[vgprValuB_X1_I0+7] // pack two int8 Vgpr to one half Vgpr
_v_lshl_or_b32 v107, v108, 0x8, v107               // pack two int8 Vgpr to one half Vgpr
v_or_b32 v[vgprValuB_X1_I0+7], v[vgprValuB_X1_I0+7], v107 // pack two half Vgpr to one Vgpr
v_mfma_i32_32x32x8i8 a[64+0:79+0], v[vgprValuA_X1_I0+0+0+0], v[vgprValuB_X1_I0+2+0+0], a[64:79]
/*  mfmaIndex:21  */
_ds_load_u8_d16_hi v71, v[vgprLocalReadAddrB] offset:4768 // L -> Reg lro=4096 swapByteOffset=0 ti=32 vIdx=5 rIdx=2 oIdx=0 buffer=0 iui=0
_ds_load_u8_d16_hi v72, v[vgprLocalReadAddrB] offset:5024 // L -> Reg lro=4096 swapByteOffset=0 ti=32 vIdx=5 rIdx=3 oIdx=0 buffer=0 iui=0
_ds_load_u8 v[vgprValuB_X0_I0+6], v[vgprLocalReadAddrB] offset:4288 // L -> Reg lro=4096 swapByteOffset=0 ti=32 vIdx=6 rIdx=0 oIdx=0 buffer=0 iui=0
_ds_load_u8 v73, v[vgprLocalReadAddrB] offset:4544 // L -> Reg lro=4096 swapByteOffset=0 ti=32 vIdx=6 rIdx=1 oIdx=0 buffer=0 iui=0
_ds_load_u8_d16_hi v74, v[vgprLocalReadAddrB] offset:4800 // L -> Reg lro=4096 swapByteOffset=0 ti=32 vIdx=6 rIdx=2 oIdx=0 buffer=0 iui=0
_ds_load_u8_d16_hi v75, v[vgprLocalReadAddrB] offset:5056 // L -> Reg lro=4096 swapByteOffset=0 ti=32 vIdx=6 rIdx=3 oIdx=0 buffer=0 iui=0
v_mfma_i32_32x32x8i8 a[80+0:95+0], v[vgprValuA_X1_I0+1+0+0], v[vgprValuB_X1_I0+2+0+0], a[80:95]
/*  mfmaIndex:22  */
_ds_load_u8 v[vgprValuB_X0_I0+7], v[vgprLocalReadAddrB] offset:4320 // L -> Reg lro=4096 swapByteOffset=0 ti=32 vIdx=7 rIdx=0 oIdx=0 buffer=0 iui=0
_ds_load_u8 v76, v[vgprLocalReadAddrB] offset:4576 // L -> Reg lro=4096 swapByteOffset=0 ti=32 vIdx=7 rIdx=1 oIdx=0 buffer=0 iui=0
_ds_load_u8_d16_hi v77, v[vgprLocalReadAddrB] offset:4832 // L -> Reg lro=4096 swapByteOffset=0 ti=32 vIdx=7 rIdx=2 oIdx=0 buffer=0 iui=0
_ds_load_u8_d16_hi v78, v[vgprLocalReadAddrB] offset:5088 // L -> Reg lro=4096 swapByteOffset=0 ti=32 vIdx=7 rIdx=3 oIdx=0 buffer=0 iui=0
/* localReadsVacancy: latencyLeft 5 */
v_mfma_i32_32x32x8i8 a[112+0:127+0], v[vgprValuA_X1_I0+1+0+0], v[vgprValuB_X1_I0+3+0+0], a[112:127]
/*  mfmaIndex:23  */
/* localReadsVacancy: latencyLeft 13 */
v_mfma_i32_32x32x8i8 a[96+0:111+0], v[vgprValuA_X1_I0+0+0+0], v[vgprValuB_X1_I0+3+0+0], a[96:111]
/*  mfmaIndex:24  */
	;; [unrolled: 3-line block ×9, first 2 shown]
/* localReadsVacancy: latencyLeft 13 */
v_mfma_i32_32x32x8i8 a[224+0:239+0], v[vgprValuA_X1_I0+0+0+0], v[vgprValuB_X1_I0+7+0+0], a[224:239]
/* numPrefetchIter=0 */
/* dataAtIterA=0 numReadsIterA=2 skipReadsIterA=1 readsPerIterA=8 */
/* dataAtIterB=0 numReadsIterB=2 skipReadsIterB=1 readsPerIterB=32 */


/* iter 2 (last unrolled loop) */

/*  grEndMfmaIndex:0, lwStartMfmaIndex:54, lwEndMfmaIndex:54  */
/*  numMfmaForLR:7, barrierMfmaIndex:56 */
/*  mfmaIndex:32  */
_ds_load_u8 v[vgprValuA_X1_I0+0], v[vgprLocalReadAddrA] offset:6144 // L -> Reg lro=6144 swapByteOffset=0 ti=128 vIdx=0 rIdx=0 oIdx=0 buffer=1 iui=0
_ds_load_u8 v79, v[vgprLocalReadAddrA] offset:6400 // L -> Reg lro=6144 swapByteOffset=0 ti=128 vIdx=0 rIdx=1 oIdx=0 buffer=1 iui=0
_ds_load_u8_d16_hi v80, v[vgprLocalReadAddrA] offset:6656 // L -> Reg lro=6144 swapByteOffset=0 ti=128 vIdx=0 rIdx=2 oIdx=0 buffer=1 iui=0
_ds_load_u8_d16_hi v81, v[vgprLocalReadAddrA] offset:6912 // L -> Reg lro=6144 swapByteOffset=0 ti=128 vIdx=0 rIdx=3 oIdx=0 buffer=1 iui=0
_ds_load_u8 v[vgprValuB_X1_I0+0], v[vgprLocalReadAddrB] offset:6144 // L -> Reg lro=6144 swapByteOffset=0 ti=32 vIdx=0 rIdx=0 oIdx=0 buffer=1 iui=0
_ds_load_u8 v85, v[vgprLocalReadAddrB] offset:6400 // L -> Reg lro=6144 swapByteOffset=0 ti=32 vIdx=0 rIdx=1 oIdx=0 buffer=1 iui=0
s_waitcnt lgkmcnt(6)                               // lgkmcnt=0 vmcnt=-1wait for prior local read local write old=0, new=6 newLW=0 newLR=6
/* pack scheduling: packAIdx:3, packBIdx:3 */
_v_lshl_or_b32 v[vgprValuA_X0_I0+0], v49, 0x8, v[vgprValuA_X0_I0+0] // pack two int8 Vgpr to one half Vgpr
_v_lshl_or_b32 v50, v51, 0x8, v50                  // pack two int8 Vgpr to one half Vgpr
v_or_b32 v[vgprValuA_X0_I0+0], v[vgprValuA_X0_I0+0], v50 // pack two half Vgpr to one Vgpr
_v_lshl_or_b32 v[vgprValuB_X0_I0+0], v55, 0x8, v[vgprValuB_X0_I0+0] // pack two int8 Vgpr to one half Vgpr
_v_lshl_or_b32 v56, v57, 0x8, v56                  // pack two int8 Vgpr to one half Vgpr
v_or_b32 v[vgprValuB_X0_I0+0], v[vgprValuB_X0_I0+0], v56 // pack two half Vgpr to one Vgpr
_v_lshl_or_b32 v[vgprValuA_X0_I0+1], v52, 0x8, v[vgprValuA_X0_I0+1] // pack two int8 Vgpr to one half Vgpr
_v_lshl_or_b32 v53, v54, 0x8, v53                  // pack two int8 Vgpr to one half Vgpr
v_or_b32 v[vgprValuA_X0_I0+1], v[vgprValuA_X0_I0+1], v53 // pack two half Vgpr to one Vgpr
v_mfma_i32_32x32x8i8 a[0+0:15+0], v[vgprValuA_X0_I0+0+0+0], v[vgprValuB_X0_I0+0+0+0], a[0:15]
/*  mfmaIndex:33  */
_ds_load_u8_d16_hi v86, v[vgprLocalReadAddrB] offset:6656 // L -> Reg lro=6144 swapByteOffset=0 ti=32 vIdx=0 rIdx=2 oIdx=0 buffer=1 iui=0
_ds_load_u8_d16_hi v87, v[vgprLocalReadAddrB] offset:6912 // L -> Reg lro=6144 swapByteOffset=0 ti=32 vIdx=0 rIdx=3 oIdx=0 buffer=1 iui=0
_ds_load_u8 v[vgprValuA_X1_I0+1], v[vgprLocalReadAddrA] offset:6272 // L -> Reg lro=6144 swapByteOffset=0 ti=128 vIdx=1 rIdx=0 oIdx=0 buffer=1 iui=0
_ds_load_u8 v82, v[vgprLocalReadAddrA] offset:6528 // L -> Reg lro=6144 swapByteOffset=0 ti=128 vIdx=1 rIdx=1 oIdx=0 buffer=1 iui=0
_ds_load_u8_d16_hi v83, v[vgprLocalReadAddrA] offset:6784 // L -> Reg lro=6144 swapByteOffset=0 ti=128 vIdx=1 rIdx=2 oIdx=0 buffer=1 iui=0
_ds_load_u8_d16_hi v84, v[vgprLocalReadAddrA] offset:7040 // L -> Reg lro=6144 swapByteOffset=0 ti=128 vIdx=1 rIdx=3 oIdx=0 buffer=1 iui=0
/* pack scheduling: packAIdx:6, packBIdx:3 */
_v_lshl_or_b32 v[vgprValuB_X0_I0+1], v58, 0x8, v[vgprValuB_X0_I0+1] // pack two int8 Vgpr to one half Vgpr
_v_lshl_or_b32 v59, v60, 0x8, v59                  // pack two int8 Vgpr to one half Vgpr
v_or_b32 v[vgprValuB_X0_I0+1], v[vgprValuB_X0_I0+1], v59 // pack two half Vgpr to one Vgpr
_v_lshl_or_b32 v[vgprValuB_X0_I0+2], v61, 0x8, v[vgprValuB_X0_I0+2] // pack two int8 Vgpr to one half Vgpr
_v_lshl_or_b32 v62, v63, 0x8, v62                  // pack two int8 Vgpr to one half Vgpr
v_or_b32 v[vgprValuB_X0_I0+2], v[vgprValuB_X0_I0+2], v62 // pack two half Vgpr to one Vgpr
v_mfma_i32_32x32x8i8 a[16+0:31+0], v[vgprValuA_X0_I0+1+0+0], v[vgprValuB_X0_I0+0+0+0], a[16:31]
/*  mfmaIndex:34  */
_ds_load_u8 v[vgprValuB_X1_I0+1], v[vgprLocalReadAddrB] offset:6176 // L -> Reg lro=6144 swapByteOffset=0 ti=32 vIdx=1 rIdx=0 oIdx=0 buffer=1 iui=0
_ds_load_u8 v88, v[vgprLocalReadAddrB] offset:6432 // L -> Reg lro=6144 swapByteOffset=0 ti=32 vIdx=1 rIdx=1 oIdx=0 buffer=1 iui=0
_ds_load_u8_d16_hi v89, v[vgprLocalReadAddrB] offset:6688 // L -> Reg lro=6144 swapByteOffset=0 ti=32 vIdx=1 rIdx=2 oIdx=0 buffer=1 iui=0
_ds_load_u8_d16_hi v90, v[vgprLocalReadAddrB] offset:6944 // L -> Reg lro=6144 swapByteOffset=0 ti=32 vIdx=1 rIdx=3 oIdx=0 buffer=1 iui=0
_ds_load_u8 v[vgprValuB_X1_I0+2], v[vgprLocalReadAddrB] offset:6208 // L -> Reg lro=6144 swapByteOffset=0 ti=32 vIdx=2 rIdx=0 oIdx=0 buffer=1 iui=0
_ds_load_u8 v91, v[vgprLocalReadAddrB] offset:6464 // L -> Reg lro=6144 swapByteOffset=0 ti=32 vIdx=2 rIdx=1 oIdx=0 buffer=1 iui=0
/* pack scheduling: packAIdx:6, packBIdx:6 */
_v_lshl_or_b32 v[vgprValuB_X0_I0+3], v64, 0x8, v[vgprValuB_X0_I0+3] // pack two int8 Vgpr to one half Vgpr
_v_lshl_or_b32 v65, v66, 0x8, v65                  // pack two int8 Vgpr to one half Vgpr
v_or_b32 v[vgprValuB_X0_I0+3], v[vgprValuB_X0_I0+3], v65 // pack two half Vgpr to one Vgpr
_v_lshl_or_b32 v[vgprValuB_X0_I0+4], v67, 0x8, v[vgprValuB_X0_I0+4] // pack two int8 Vgpr to one half Vgpr
_v_lshl_or_b32 v68, v69, 0x8, v68                  // pack two int8 Vgpr to one half Vgpr
v_or_b32 v[vgprValuB_X0_I0+4], v[vgprValuB_X0_I0+4], v68 // pack two half Vgpr to one Vgpr
v_mfma_i32_32x32x8i8 a[48+0:63+0], v[vgprValuA_X0_I0+1+0+0], v[vgprValuB_X0_I0+1+0+0], a[48:63]
/*  mfmaIndex:35  */
_ds_load_u8_d16_hi v92, v[vgprLocalReadAddrB] offset:6720 // L -> Reg lro=6144 swapByteOffset=0 ti=32 vIdx=2 rIdx=2 oIdx=0 buffer=1 iui=0
_ds_load_u8_d16_hi v93, v[vgprLocalReadAddrB] offset:6976 // L -> Reg lro=6144 swapByteOffset=0 ti=32 vIdx=2 rIdx=3 oIdx=0 buffer=1 iui=0
_ds_load_u8 v[vgprValuB_X1_I0+3], v[vgprLocalReadAddrB] offset:6240 // L -> Reg lro=6144 swapByteOffset=0 ti=32 vIdx=3 rIdx=0 oIdx=0 buffer=1 iui=0
_ds_load_u8 v94, v[vgprLocalReadAddrB] offset:6496 // L -> Reg lro=6144 swapByteOffset=0 ti=32 vIdx=3 rIdx=1 oIdx=0 buffer=1 iui=0
_ds_load_u8_d16_hi v95, v[vgprLocalReadAddrB] offset:6752 // L -> Reg lro=6144 swapByteOffset=0 ti=32 vIdx=3 rIdx=2 oIdx=0 buffer=1 iui=0
_ds_load_u8_d16_hi v96, v[vgprLocalReadAddrB] offset:7008 // L -> Reg lro=6144 swapByteOffset=0 ti=32 vIdx=3 rIdx=3 oIdx=0 buffer=1 iui=0
/* pack scheduling: packAIdx:6, packBIdx:6 */
_v_lshl_or_b32 v[vgprValuB_X0_I0+5], v70, 0x8, v[vgprValuB_X0_I0+5] // pack two int8 Vgpr to one half Vgpr
_v_lshl_or_b32 v71, v72, 0x8, v71                  // pack two int8 Vgpr to one half Vgpr
v_or_b32 v[vgprValuB_X0_I0+5], v[vgprValuB_X0_I0+5], v71 // pack two half Vgpr to one Vgpr
_v_lshl_or_b32 v[vgprValuB_X0_I0+6], v73, 0x8, v[vgprValuB_X0_I0+6] // pack two int8 Vgpr to one half Vgpr
_v_lshl_or_b32 v74, v75, 0x8, v74                  // pack two int8 Vgpr to one half Vgpr
v_or_b32 v[vgprValuB_X0_I0+6], v[vgprValuB_X0_I0+6], v74 // pack two half Vgpr to one Vgpr
v_mfma_i32_32x32x8i8 a[32+0:47+0], v[vgprValuA_X0_I0+0+0+0], v[vgprValuB_X0_I0+1+0+0], a[32:47]
/*  mfmaIndex:36  */
_ds_load_u8 v[vgprValuB_X1_I0+4], v[vgprLocalReadAddrB] offset:6272 // L -> Reg lro=6144 swapByteOffset=0 ti=32 vIdx=4 rIdx=0 oIdx=0 buffer=1 iui=0
_ds_load_u8 v97, v[vgprLocalReadAddrB] offset:6528 // L -> Reg lro=6144 swapByteOffset=0 ti=32 vIdx=4 rIdx=1 oIdx=0 buffer=1 iui=0
_ds_load_u8_d16_hi v98, v[vgprLocalReadAddrB] offset:6784 // L -> Reg lro=6144 swapByteOffset=0 ti=32 vIdx=4 rIdx=2 oIdx=0 buffer=1 iui=0
_ds_load_u8_d16_hi v99, v[vgprLocalReadAddrB] offset:7040 // L -> Reg lro=6144 swapByteOffset=0 ti=32 vIdx=4 rIdx=3 oIdx=0 buffer=1 iui=0
_ds_load_u8 v[vgprValuB_X1_I0+5], v[vgprLocalReadAddrB] offset:6304 // L -> Reg lro=6144 swapByteOffset=0 ti=32 vIdx=5 rIdx=0 oIdx=0 buffer=1 iui=0
_ds_load_u8 v100, v[vgprLocalReadAddrB] offset:6560 // L -> Reg lro=6144 swapByteOffset=0 ti=32 vIdx=5 rIdx=1 oIdx=0 buffer=1 iui=0
/* pack scheduling: packAIdx:6, packBIdx:9 */
_v_lshl_or_b32 v[vgprValuB_X0_I0+7], v76, 0x8, v[vgprValuB_X0_I0+7] // pack two int8 Vgpr to one half Vgpr
_v_lshl_or_b32 v77, v78, 0x8, v77                  // pack two int8 Vgpr to one half Vgpr
v_or_b32 v[vgprValuB_X0_I0+7], v[vgprValuB_X0_I0+7], v77 // pack two half Vgpr to one Vgpr
v_mfma_i32_32x32x8i8 a[64+0:79+0], v[vgprValuA_X0_I0+0+0+0], v[vgprValuB_X0_I0+2+0+0], a[64:79]
/*  mfmaIndex:37  */
_ds_load_u8_d16_hi v101, v[vgprLocalReadAddrB] offset:6816 // L -> Reg lro=6144 swapByteOffset=0 ti=32 vIdx=5 rIdx=2 oIdx=0 buffer=1 iui=0
_ds_load_u8_d16_hi v102, v[vgprLocalReadAddrB] offset:7072 // L -> Reg lro=6144 swapByteOffset=0 ti=32 vIdx=5 rIdx=3 oIdx=0 buffer=1 iui=0
_ds_load_u8 v[vgprValuB_X1_I0+6], v[vgprLocalReadAddrB] offset:6336 // L -> Reg lro=6144 swapByteOffset=0 ti=32 vIdx=6 rIdx=0 oIdx=0 buffer=1 iui=0
_ds_load_u8 v103, v[vgprLocalReadAddrB] offset:6592 // L -> Reg lro=6144 swapByteOffset=0 ti=32 vIdx=6 rIdx=1 oIdx=0 buffer=1 iui=0
_ds_load_u8_d16_hi v104, v[vgprLocalReadAddrB] offset:6848 // L -> Reg lro=6144 swapByteOffset=0 ti=32 vIdx=6 rIdx=2 oIdx=0 buffer=1 iui=0
_ds_load_u8_d16_hi v105, v[vgprLocalReadAddrB] offset:7104 // L -> Reg lro=6144 swapByteOffset=0 ti=32 vIdx=6 rIdx=3 oIdx=0 buffer=1 iui=0
v_mfma_i32_32x32x8i8 a[80+0:95+0], v[vgprValuA_X0_I0+1+0+0], v[vgprValuB_X0_I0+2+0+0], a[80:95]
/*  mfmaIndex:38  */
_ds_load_u8 v[vgprValuB_X1_I0+7], v[vgprLocalReadAddrB] offset:6368 // L -> Reg lro=6144 swapByteOffset=0 ti=32 vIdx=7 rIdx=0 oIdx=0 buffer=1 iui=0
_ds_load_u8 v106, v[vgprLocalReadAddrB] offset:6624 // L -> Reg lro=6144 swapByteOffset=0 ti=32 vIdx=7 rIdx=1 oIdx=0 buffer=1 iui=0
_ds_load_u8_d16_hi v107, v[vgprLocalReadAddrB] offset:6880 // L -> Reg lro=6144 swapByteOffset=0 ti=32 vIdx=7 rIdx=2 oIdx=0 buffer=1 iui=0
_ds_load_u8_d16_hi v108, v[vgprLocalReadAddrB] offset:7136 // L -> Reg lro=6144 swapByteOffset=0 ti=32 vIdx=7 rIdx=3 oIdx=0 buffer=1 iui=0
/* localReadsVacancy: latencyLeft 5 */
v_mfma_i32_32x32x8i8 a[112+0:127+0], v[vgprValuA_X0_I0+1+0+0], v[vgprValuB_X0_I0+3+0+0], a[112:127]
/*  mfmaIndex:39  */
/* localReadsVacancy: latencyLeft 13 */
v_mfma_i32_32x32x8i8 a[96+0:111+0], v[vgprValuA_X0_I0+0+0+0], v[vgprValuB_X0_I0+3+0+0], a[96:111]
/*  mfmaIndex:40  */
/* localReadsVacancy: latencyLeft 13 */
v_mfma_i32_32x32x8i8 a[128+0:143+0], v[vgprValuA_X0_I0+0+0+0], v[vgprValuB_X0_I0+4+0+0], a[128:143]
/*  mfmaIndex:41  */
/* localReadsVacancy: latencyLeft 13 */
v_mfma_i32_32x32x8i8 a[144+0:159+0], v[vgprValuA_X0_I0+1+0+0], v[vgprValuB_X0_I0+4+0+0], a[144:159]
/*  mfmaIndex:42  */
/* localReadsVacancy: latencyLeft 13 */
v_mfma_i32_32x32x8i8 a[176+0:191+0], v[vgprValuA_X0_I0+1+0+0], v[vgprValuB_X0_I0+5+0+0], a[176:191]
/*  mfmaIndex:43  */
/* localReadsVacancy: latencyLeft 13 */
v_mfma_i32_32x32x8i8 a[160+0:175+0], v[vgprValuA_X0_I0+0+0+0], v[vgprValuB_X0_I0+5+0+0], a[160:175]
/*  mfmaIndex:44  */
/* localReadsVacancy: latencyLeft 13 */
v_mfma_i32_32x32x8i8 a[192+0:207+0], v[vgprValuA_X0_I0+0+0+0], v[vgprValuB_X0_I0+6+0+0], a[192:207]
/*  mfmaIndex:45  */
/* localReadsVacancy: latencyLeft 13 */
v_mfma_i32_32x32x8i8 a[208+0:223+0], v[vgprValuA_X0_I0+1+0+0], v[vgprValuB_X0_I0+6+0+0], a[208:223]
/*  mfmaIndex:46  */
/* localReadsVacancy: latencyLeft 13 */
v_mfma_i32_32x32x8i8 a[240+0:255+0], v[vgprValuA_X0_I0+1+0+0], v[vgprValuB_X0_I0+7+0+0], a[240:255]
/*  mfmaIndex:47  */
/* localReadsVacancy: latencyLeft 13 */
v_mfma_i32_32x32x8i8 a[224+0:239+0], v[vgprValuA_X0_I0+0+0+0], v[vgprValuB_X0_I0+7+0+0], a[224:239]
/* numPrefetchIter=0 */
/* dataAtIterA=1 numReadsIterA=3 skipReadsIterA=1 readsPerIterA=8 */
/* dataAtIterB=1 numReadsIterB=3 skipReadsIterB=1 readsPerIterB=32 */


/* iter 3 (last unrolled loop) */

/*  grEndMfmaIndex:0, lwStartMfmaIndex:54, lwEndMfmaIndex:54  */
/*  numMfmaForLR:7, barrierMfmaIndex:56 */
/*  mfmaIndex:48  */
s_waitcnt lgkmcnt(0)                               // lgkmcnt=0 vmcnt=-1wait for prior local read local write old=0, new=0 newLW=0 newLR=0
/* pack scheduling: packAIdx:3, packBIdx:3 */
_v_lshl_or_b32 v[vgprValuA_X1_I0+0], v79, 0x8, v[vgprValuA_X1_I0+0] // pack two int8 Vgpr to one half Vgpr
_v_lshl_or_b32 v80, v81, 0x8, v80                  // pack two int8 Vgpr to one half Vgpr
v_or_b32 v[vgprValuA_X1_I0+0], v[vgprValuA_X1_I0+0], v80 // pack two half Vgpr to one Vgpr
_v_lshl_or_b32 v[vgprValuB_X1_I0+0], v85, 0x8, v[vgprValuB_X1_I0+0] // pack two int8 Vgpr to one half Vgpr
_v_lshl_or_b32 v86, v87, 0x8, v86                  // pack two int8 Vgpr to one half Vgpr
v_or_b32 v[vgprValuB_X1_I0+0], v[vgprValuB_X1_I0+0], v86 // pack two half Vgpr to one Vgpr
_v_lshl_or_b32 v[vgprValuA_X1_I0+1], v82, 0x8, v[vgprValuA_X1_I0+1] // pack two int8 Vgpr to one half Vgpr
_v_lshl_or_b32 v83, v84, 0x8, v83                  // pack two int8 Vgpr to one half Vgpr
v_or_b32 v[vgprValuA_X1_I0+1], v[vgprValuA_X1_I0+1], v83 // pack two half Vgpr to one Vgpr
v_mfma_i32_32x32x8i8 a[0+0:15+0], v[vgprValuA_X1_I0+0+0+0], v[vgprValuB_X1_I0+0+0+0], a[0:15]
/*  mfmaIndex:49  */
/* pack scheduling: packAIdx:6, packBIdx:3 */
_v_lshl_or_b32 v[vgprValuB_X1_I0+1], v88, 0x8, v[vgprValuB_X1_I0+1] // pack two int8 Vgpr to one half Vgpr
_v_lshl_or_b32 v89, v90, 0x8, v89                  // pack two int8 Vgpr to one half Vgpr
v_or_b32 v[vgprValuB_X1_I0+1], v[vgprValuB_X1_I0+1], v89 // pack two half Vgpr to one Vgpr
_v_lshl_or_b32 v[vgprValuB_X1_I0+2], v91, 0x8, v[vgprValuB_X1_I0+2] // pack two int8 Vgpr to one half Vgpr
_v_lshl_or_b32 v92, v93, 0x8, v92                  // pack two int8 Vgpr to one half Vgpr
v_or_b32 v[vgprValuB_X1_I0+2], v[vgprValuB_X1_I0+2], v92 // pack two half Vgpr to one Vgpr
v_mfma_i32_32x32x8i8 a[16+0:31+0], v[vgprValuA_X1_I0+1+0+0], v[vgprValuB_X1_I0+0+0+0], a[16:31]
/*  mfmaIndex:50  */
/* pack scheduling: packAIdx:6, packBIdx:6 */
_v_lshl_or_b32 v[vgprValuB_X1_I0+3], v94, 0x8, v[vgprValuB_X1_I0+3] // pack two int8 Vgpr to one half Vgpr
_v_lshl_or_b32 v95, v96, 0x8, v95                  // pack two int8 Vgpr to one half Vgpr
v_or_b32 v[vgprValuB_X1_I0+3], v[vgprValuB_X1_I0+3], v95 // pack two half Vgpr to one Vgpr
_v_lshl_or_b32 v[vgprValuB_X1_I0+4], v97, 0x8, v[vgprValuB_X1_I0+4] // pack two int8 Vgpr to one half Vgpr
_v_lshl_or_b32 v98, v99, 0x8, v98                  // pack two int8 Vgpr to one half Vgpr
v_or_b32 v[vgprValuB_X1_I0+4], v[vgprValuB_X1_I0+4], v98 // pack two half Vgpr to one Vgpr
v_mfma_i32_32x32x8i8 a[48+0:63+0], v[vgprValuA_X1_I0+1+0+0], v[vgprValuB_X1_I0+1+0+0], a[48:63]
/*  mfmaIndex:51  */
/* pack scheduling: packAIdx:6, packBIdx:6 */
_v_lshl_or_b32 v[vgprValuB_X1_I0+5], v100, 0x8, v[vgprValuB_X1_I0+5] // pack two int8 Vgpr to one half Vgpr
_v_lshl_or_b32 v101, v102, 0x8, v101               // pack two int8 Vgpr to one half Vgpr
v_or_b32 v[vgprValuB_X1_I0+5], v[vgprValuB_X1_I0+5], v101 // pack two half Vgpr to one Vgpr
_v_lshl_or_b32 v[vgprValuB_X1_I0+6], v103, 0x8, v[vgprValuB_X1_I0+6] // pack two int8 Vgpr to one half Vgpr
_v_lshl_or_b32 v104, v105, 0x8, v104               // pack two int8 Vgpr to one half Vgpr
v_or_b32 v[vgprValuB_X1_I0+6], v[vgprValuB_X1_I0+6], v104 // pack two half Vgpr to one Vgpr
v_mfma_i32_32x32x8i8 a[32+0:47+0], v[vgprValuA_X1_I0+0+0+0], v[vgprValuB_X1_I0+1+0+0], a[32:47]
/*  mfmaIndex:52  */
/* pack scheduling: packAIdx:6, packBIdx:9 */
_v_lshl_or_b32 v[vgprValuB_X1_I0+7], v106, 0x8, v[vgprValuB_X1_I0+7] // pack two int8 Vgpr to one half Vgpr
_v_lshl_or_b32 v107, v108, 0x8, v107               // pack two int8 Vgpr to one half Vgpr
v_or_b32 v[vgprValuB_X1_I0+7], v[vgprValuB_X1_I0+7], v107 // pack two half Vgpr to one Vgpr
v_mfma_i32_32x32x8i8 a[64+0:79+0], v[vgprValuA_X1_I0+0+0+0], v[vgprValuB_X1_I0+2+0+0], a[64:79]
/*  mfmaIndex:53  */
v_mfma_i32_32x32x8i8 a[80+0:95+0], v[vgprValuA_X1_I0+1+0+0], v[vgprValuB_X1_I0+2+0+0], a[80:95]
/*  mfmaIndex:54  */
	;; [unrolled: 2-line block ×11, first 2 shown]
v_mfma_i32_32x32x8i8 a[224+0:239+0], v[vgprValuA_X1_I0+0+0+0], v[vgprValuB_X1_I0+7+0+0], a[224:239]
/* numPrefetchIter=0 */
/* dataAtIterA=2 numReadsIterA=3 skipReadsIterA=0 readsPerIterA=8 */
/* dataAtIterB=2 numReadsIterB=3 skipReadsIterB=0 readsPerIterB=32 */

PrefetchGlobalLastIterEnd_5:


/******************************************/
/* Tail Loop                              */
/******************************************/


/* local write reset offsets a */


v_and_b32 v[vgprLocalWriteAddrA], 0xf03fff, v[vgprLocalWriteAddrA] // reset to Red


/* local write reset offsets b */


v_and_b32 v[vgprLocalWriteAddrB], 0xf03fff, v[vgprLocalWriteAddrB] // reset to Red


//numIterL = (((sizeL % LOCAL_DEPTHU) + LOCAL_SPLITU - 1) / LOCAL_SPLITU)
s_and_b32 s[sgprLoopCounterL], 31, s[sgprSizesSum+0] // s[sgprLoopCounterL] = s[sgprSizesSum+0] % 32
s_cmp_eq_u32 s[sgprLoopCounterL], 0x0              // numIterL == 0
s_cbranch_scc1 SkipTailLoopL_8                     // skip to end of tail loop b/c numIter==0
s_mov_b32 s[sgprOrigLoopCounter], 0                // repurpose to count each localRead increment


/* Update M0 for DTLDS */


	;; [unrolled: 1-line block ×3, first 2 shown]
/* global read a */

/* g2l=0, load component 0 */
_buffer_load_b64 v[vgprG2LA+0+0:vgprG2LA+0+0+1], v[vgprGlobalReadOffsetA+0], s[sgprSrdA:sgprSrdA+3], 0, offen offset:0 // load packed 8X buffer value
/* g2l=2, load component 0 */
_buffer_load_b64 v[vgprG2LA+2+0:vgprG2LA+2+0+1], v[vgprGlobalReadOffsetA+1], s[sgprSrdA:sgprSrdA+3], 0, offen offset:0 // load packed 8X buffer value
	;; [unrolled: 2-line block ×4, first 2 shown]


/* Update M0 for DTLDS */



/* global read b */

/* g2l=0, load component 0 */
_buffer_load_d16_u8 v[vgprG2LB+0+0], v[vgprGlobalReadOffsetB+0], s[sgprSrdB:sgprSrdB+3], 0, offen offset:0 // load one buffer value
/* g2l=0, load component 1 */
_buffer_load_d16_u8 v49, v[vgprGlobalReadOffsetB+0], s[sgprSrdB:sgprSrdB+3], 0, offen offset:1 // load one buffer value
/* g2l=0, load component 2 */
_buffer_load_d16_hi_u8 v50, v[vgprGlobalReadOffsetB+0], s[sgprSrdB:sgprSrdB+3], 0, offen offset:2 // load one buffer value
/* g2l=0, load component 3 */
_buffer_load_d16_hi_u8 v51, v[vgprGlobalReadOffsetB+0], s[sgprSrdB:sgprSrdB+3], 0, offen offset:3 // load one buffer value
/* g2l=0, load component 4 */
_buffer_load_d16_u8 v[vgprG2LB+0+1], v[vgprGlobalReadOffsetB+0], s[sgprSrdB:sgprSrdB+3], 0, offen offset:4 // load one buffer value
/* g2l=0, load component 5 */
_buffer_load_d16_u8 v53, v[vgprGlobalReadOffsetB+0], s[sgprSrdB:sgprSrdB+3], 0, offen offset:5 // load one buffer value
/* g2l=0, load component 6 */
_buffer_load_d16_hi_u8 v54, v[vgprGlobalReadOffsetB+0], s[sgprSrdB:sgprSrdB+3], 0, offen offset:6 // load one buffer value
/* g2l=0, load component 7 */
_buffer_load_d16_hi_u8 v55, v[vgprGlobalReadOffsetB+0], s[sgprSrdB:sgprSrdB+3], 0, offen offset:7 // load one buffer value
s_waitcnt vmcnt(6)
v_lshlrev_b32 v49, 0x8, v49                        // shift left to higher 8 bits
v_or_b32 v[vgprG2LB+0+0], v[vgprG2LB+0+0], v49     // pack a sub 8-bit with dest
s_waitcnt vmcnt(5)
v_or_b32 v[vgprG2LB+0+0], v[vgprG2LB+0+0], v50     // pack a sub 8-bit with dest
s_waitcnt vmcnt(4)
v_lshlrev_b32 v51, 0x8, v51                        // shift left to higher 8 bits
v_or_b32 v[vgprG2LB+0+0], v[vgprG2LB+0+0], v51     // pack a sub 8-bit with dest
s_waitcnt vmcnt(2)
v_lshlrev_b32 v53, 0x8, v53                        // shift left to higher 8 bits
v_or_b32 v[vgprG2LB+0+1], v[vgprG2LB+0+1], v53     // pack a sub 8-bit with dest
s_waitcnt vmcnt(1)
v_or_b32 v[vgprG2LB+0+1], v[vgprG2LB+0+1], v54     // pack a sub 8-bit with dest
s_waitcnt vmcnt(0)
v_lshlrev_b32 v55, 0x8, v55                        // shift left to higher 8 bits
v_or_b32 v[vgprG2LB+0+1], v[vgprG2LB+0+1], v55     // pack a sub 8-bit with dest
/* g2l=2, load component 0 */
_buffer_load_d16_u8 v[vgprG2LB+2+0], v[vgprGlobalReadOffsetB+1], s[sgprSrdB:sgprSrdB+3], 0, offen offset:0 // load one buffer value
/* g2l=2, load component 1 */
_buffer_load_d16_u8 v49, v[vgprGlobalReadOffsetB+1], s[sgprSrdB:sgprSrdB+3], 0, offen offset:1 // load one buffer value
/* g2l=2, load component 2 */
_buffer_load_d16_hi_u8 v50, v[vgprGlobalReadOffsetB+1], s[sgprSrdB:sgprSrdB+3], 0, offen offset:2 // load one buffer value
/* g2l=2, load component 3 */
_buffer_load_d16_hi_u8 v51, v[vgprGlobalReadOffsetB+1], s[sgprSrdB:sgprSrdB+3], 0, offen offset:3 // load one buffer value
/* g2l=2, load component 4 */
_buffer_load_d16_u8 v[vgprG2LB+2+1], v[vgprGlobalReadOffsetB+1], s[sgprSrdB:sgprSrdB+3], 0, offen offset:4 // load one buffer value
/* g2l=2, load component 5 */
_buffer_load_d16_u8 v53, v[vgprGlobalReadOffsetB+1], s[sgprSrdB:sgprSrdB+3], 0, offen offset:5 // load one buffer value
/* g2l=2, load component 6 */
_buffer_load_d16_hi_u8 v54, v[vgprGlobalReadOffsetB+1], s[sgprSrdB:sgprSrdB+3], 0, offen offset:6 // load one buffer value
/* g2l=2, load component 7 */
_buffer_load_d16_hi_u8 v55, v[vgprGlobalReadOffsetB+1], s[sgprSrdB:sgprSrdB+3], 0, offen offset:7 // load one buffer value
s_waitcnt vmcnt(6)
v_lshlrev_b32 v49, 0x8, v49                        // shift left to higher 8 bits
v_or_b32 v[vgprG2LB+2+0], v[vgprG2LB+2+0], v49     // pack a sub 8-bit with dest
s_waitcnt vmcnt(5)
v_or_b32 v[vgprG2LB+2+0], v[vgprG2LB+2+0], v50     // pack a sub 8-bit with dest
s_waitcnt vmcnt(4)
v_lshlrev_b32 v51, 0x8, v51                        // shift left to higher 8 bits
v_or_b32 v[vgprG2LB+2+0], v[vgprG2LB+2+0], v51     // pack a sub 8-bit with dest
s_waitcnt vmcnt(2)
v_lshlrev_b32 v53, 0x8, v53                        // shift left to higher 8 bits
v_or_b32 v[vgprG2LB+2+1], v[vgprG2LB+2+1], v53     // pack a sub 8-bit with dest
s_waitcnt vmcnt(1)
v_or_b32 v[vgprG2LB+2+1], v[vgprG2LB+2+1], v54     // pack a sub 8-bit with dest
s_waitcnt vmcnt(0)
v_lshlrev_b32 v55, 0x8, v55                        // shift left to higher 8 bits
v_or_b32 v[vgprG2LB+2+1], v[vgprG2LB+2+1], v55     // pack a sub 8-bit with dest
	;; [unrolled: 32-line block ×4, first 2 shown]

s_waitcnt vmcnt(0)                                 // lgkmcnt=-1 vmcnt=02wait for global read

s_waitcnt lgkmcnt(0) & vmcnt(0)                    // force waitcnt0
s_barrier //


/* Done global A/B reads */


	;; [unrolled: 1-line block ×4, first 2 shown]
/* local write a */

_ds_store_b64 v[vgprLocalWriteAddrA], v[vgprG2LA+0:vgprG2LA+0+1] offset:0 // lwoA_0_0_0_0 = (0*LSCA) + (0*LSPA)(*MT0I+PAD) = 0
_ds_store_b64 v[vgprLocalWriteAddrA], v[vgprG2LA+2:vgprG2LA+2+1] offset:512 // lwoA_0_0_1_0 = (0*LSCA) + (1*LSPA)(*MT0I+PAD) = 512
_ds_store_b64 v[vgprLocalWriteAddrA], v[vgprG2LA+4:vgprG2LA+4+1] offset:1024 // lwoA_0_0_2_0 = (0*LSCA) + (2*LSPA)(*MT0I+PAD) = 1024
_ds_store_b64 v[vgprLocalWriteAddrA], v[vgprG2LA+6:vgprG2LA+6+1] offset:1536 // lwoA_0_0_3_0 = (0*LSCA) + (3*LSPA)(*MT0I+PAD) = 1536


/* local write b */

_ds_store_b64 v[vgprLocalWriteAddrB], v[vgprG2LB+0:vgprG2LB+0+1] offset:0 // lwoB_0_0_0_0 = (0*LSCB) + (0*LSPB)(*MT1J+PAD) = 0
_ds_store_b64 v[vgprLocalWriteAddrB], v[vgprG2LB+2:vgprG2LB+2+1] offset:512 // lwoB_0_0_1_0 = (0*LSCB) + (1*LSPB)(*MT1J+PAD) = 512
_ds_store_b64 v[vgprLocalWriteAddrB], v[vgprG2LB+4:vgprG2LB+4+1] offset:1024 // lwoB_0_0_2_0 = (0*LSCB) + (2*LSPB)(*MT1J+PAD) = 1024
_ds_store_b64 v[vgprLocalWriteAddrB], v[vgprG2LB+6:vgprG2LB+6+1] offset:1536 // lwoB_0_0_3_0 = (0*LSCB) + (3*LSPB)(*MT1J+PAD) = 1536


/* Recalc local read offsets */


s_waitcnt lgkmcnt(0)                               // lgkmcnt=0 vmcnt=-15wait for local write

s_waitcnt lgkmcnt(0) & vmcnt(0)                    // force waitcnt0
s_barrier //


/* local read reset offsets a */


/* localReadResetOffsets */
/* handled internally */
v_and_b32 v[vgprLocalReadAddrA], 0x3fff, v[vgprLocalReadAddrA] // reset Red,Blk -> Red


/* local read reset offsets b */


/* localReadResetOffsets */
/* handled internally */
v_and_b32 v[vgprLocalReadAddrB], 0x3fff, v[vgprLocalReadAddrB] // reset Red,Blk -> Red


/* local read init pointers a */


/* localReadInitPointers */


/* local read init pointers b */


/* localReadInitPointers */


/* tail loop: macs */

TailLoopBeginL_6:


/* local read a */

_ds_load_u8 v[vgprValuA_X0_I0+0], v[vgprLocalReadAddrA] offset:0 // L -> Reg lro=0 swapByteOffset=0 ti=128 vIdx=0 rIdx=0 oIdx=0 buffer=0 iui=0
_ds_load_u8 v49, v[vgprLocalReadAddrA] offset:256  // L -> Reg lro=0 swapByteOffset=0 ti=128 vIdx=0 rIdx=1 oIdx=0 buffer=0 iui=0
_ds_load_u8_d16_hi v50, v[vgprLocalReadAddrA] offset:512 // L -> Reg lro=0 swapByteOffset=0 ti=128 vIdx=0 rIdx=2 oIdx=0 buffer=0 iui=0
_ds_load_u8_d16_hi v51, v[vgprLocalReadAddrA] offset:768 // L -> Reg lro=0 swapByteOffset=0 ti=128 vIdx=0 rIdx=3 oIdx=0 buffer=0 iui=0
_ds_load_u8 v[vgprValuA_X0_I0+1], v[vgprLocalReadAddrA] offset:128 // L -> Reg lro=0 swapByteOffset=0 ti=128 vIdx=1 rIdx=0 oIdx=0 buffer=0 iui=0
_ds_load_u8 v52, v[vgprLocalReadAddrA] offset:384  // L -> Reg lro=0 swapByteOffset=0 ti=128 vIdx=1 rIdx=1 oIdx=0 buffer=0 iui=0
_ds_load_u8_d16_hi v53, v[vgprLocalReadAddrA] offset:640 // L -> Reg lro=0 swapByteOffset=0 ti=128 vIdx=1 rIdx=2 oIdx=0 buffer=0 iui=0
_ds_load_u8_d16_hi v54, v[vgprLocalReadAddrA] offset:896 // L -> Reg lro=0 swapByteOffset=0 ti=128 vIdx=1 rIdx=3 oIdx=0 buffer=0 iui=0


/* local read b */

_ds_load_u8 v[vgprValuB_X0_I0+0], v[vgprLocalReadAddrB] offset:0 // L -> Reg lro=0 swapByteOffset=0 ti=32 vIdx=0 rIdx=0 oIdx=0 buffer=0 iui=0
_ds_load_u8 v55, v[vgprLocalReadAddrB] offset:256  // L -> Reg lro=0 swapByteOffset=0 ti=32 vIdx=0 rIdx=1 oIdx=0 buffer=0 iui=0
_ds_load_u8_d16_hi v56, v[vgprLocalReadAddrB] offset:512 // L -> Reg lro=0 swapByteOffset=0 ti=32 vIdx=0 rIdx=2 oIdx=0 buffer=0 iui=0
_ds_load_u8_d16_hi v57, v[vgprLocalReadAddrB] offset:768 // L -> Reg lro=0 swapByteOffset=0 ti=32 vIdx=0 rIdx=3 oIdx=0 buffer=0 iui=0
_ds_load_u8 v[vgprValuB_X0_I0+1], v[vgprLocalReadAddrB] offset:32 // L -> Reg lro=0 swapByteOffset=0 ti=32 vIdx=1 rIdx=0 oIdx=0 buffer=0 iui=0
_ds_load_u8 v58, v[vgprLocalReadAddrB] offset:288  // L -> Reg lro=0 swapByteOffset=0 ti=32 vIdx=1 rIdx=1 oIdx=0 buffer=0 iui=0
_ds_load_u8_d16_hi v59, v[vgprLocalReadAddrB] offset:544 // L -> Reg lro=0 swapByteOffset=0 ti=32 vIdx=1 rIdx=2 oIdx=0 buffer=0 iui=0
_ds_load_u8_d16_hi v60, v[vgprLocalReadAddrB] offset:800 // L -> Reg lro=0 swapByteOffset=0 ti=32 vIdx=1 rIdx=3 oIdx=0 buffer=0 iui=0
	;; [unrolled: 4-line block ×8, first 2 shown]


/* local read inc a */

s_mov_b32 s31, 0x800                               // inc
_v_add_co_u32 v[vgprLocalReadAddrA], vcc, s31, v[vgprLocalReadAddrA] // lrA += 2048 (LSU*(MT+PAD)*bpe)


/* local read inc b */

s_mov_b32 s31, 0x800                               // inc
_v_add_co_u32 v[vgprLocalReadAddrB], vcc, s31, v[vgprLocalReadAddrB] // lrB += 2048 (LSU*(MT+PAD)*bpe)

s_waitcnt lgkmcnt(0)                               // lgkmcnt=0 vmcnt=-14wait for local read

_v_lshl_or_b32 v[vgprValuA_X0_I0+0], v49, 0x8, v[vgprValuA_X0_I0+0] // pack two int8 Vgpr to one half Vgpr
_v_lshl_or_b32 v50, v51, 0x8, v50                  // pack two int8 Vgpr to one half Vgpr
v_or_b32 v[vgprValuA_X0_I0+0], v[vgprValuA_X0_I0+0], v50 // pack two half Vgpr to one Vgpr
_v_lshl_or_b32 v[vgprValuA_X0_I0+1], v52, 0x8, v[vgprValuA_X0_I0+1] // pack two int8 Vgpr to one half Vgpr
_v_lshl_or_b32 v53, v54, 0x8, v53                  // pack two int8 Vgpr to one half Vgpr
v_or_b32 v[vgprValuA_X0_I0+1], v[vgprValuA_X0_I0+1], v53 // pack two half Vgpr to one Vgpr
_v_lshl_or_b32 v[vgprValuB_X0_I0+0], v55, 0x8, v[vgprValuB_X0_I0+0] // pack two int8 Vgpr to one half Vgpr
_v_lshl_or_b32 v56, v57, 0x8, v56                  // pack two int8 Vgpr to one half Vgpr
v_or_b32 v[vgprValuB_X0_I0+0], v[vgprValuB_X0_I0+0], v56 // pack two half Vgpr to one Vgpr
_v_lshl_or_b32 v[vgprValuB_X0_I0+1], v58, 0x8, v[vgprValuB_X0_I0+1] // pack two int8 Vgpr to one half Vgpr
_v_lshl_or_b32 v59, v60, 0x8, v59                  // pack two int8 Vgpr to one half Vgpr
v_or_b32 v[vgprValuB_X0_I0+1], v[vgprValuB_X0_I0+1], v59 // pack two half Vgpr to one Vgpr
	;; [unrolled: 3-line block ×8, first 2 shown]

s_nop 1
v_mfma_i32_32x32x8i8 a[0+0:15+0], v[vgprValuA_X0_I0+0+0+0], v[vgprValuB_X0_I0+0+0+0], a[0:15]
v_mfma_i32_32x32x8i8 a[16+0:31+0], v[vgprValuA_X0_I0+1+0+0], v[vgprValuB_X0_I0+0+0+0], a[16:31]
	;; [unrolled: 1-line block ×16, first 2 shown]


/* closeLoop loopL finalLoop=1 tailLoop=1 */
s_sub_i32 s[sgprLoopCounterL], s[sgprLoopCounterL], 0x8 // dec counterL (tailLoop)
s_add_u32 s[sgprOrigLoopCounter], s[sgprOrigLoopCounter], 0x8 // inc counterL
s_cmp_le_i32 s[sgprLoopCounterL], 0x0              // counterL<=0
s_cbranch_scc0 TailLoopBeginL_6                    // restart LoopL
TailLoopEndL_7:

SkipTailLoopL_8:

Summation_End_28:
/* endSummation: add vgpr [0...46) to pool */

/* Mapping of Acc register -> C Vgpr register */


/* shift vector components d1 */

v_mov_b32 v1, s[sgprWorkGroup1]                    // 
v_mul_i32_i24 v1, -0x100, v1                       // wg*MT
_v_add_co_u32 v1, vcc, s[sgprSizesFree+1], v1      // wgMT = Size - wg*MT
v_mov_b32 v2, 0x100                                // MT
v_min_u32 v1, v2, v1                               // wgMT = (wgMT < MT) ? wgMT : MT
v_lshrrev_b32 v0, 8, v[vgprSerial]                 // v0 = v[vgprSerial] / 256
v_and_b32 v3, 0, v0                                // v3 = v0 % 1
v_lshrrev_b32 v0, 5, v1                            // v0 = v1 / 32
v_and_b32 v4, 0, v0                                // v4 = v0 % 1
v_cmp_eq_u32 s[32:33], v4, v3                      // wave_id == block_belong_to_wave?
v_cndmask_b32 v1, v2, v1, s[32:33]                 // wgMT = (wgMT < MT) ? wgMT : MT

/* mbReg: which mb block need to shift, mb(matrixInstCoal(32) * VectorWidth(1)) */
v_lshrrev_b32 v2, 5, v1                            // v2 = v1 / 32
v_lshlrev_b32 v4, 0x0, v3                          // v4 = v3 * 1
_v_sub_u32 v2, v2, v4                              // 

/* gbReg: glvw block id */
v_lshrrev_b32 v4, 3, v1                            // v4 = v1 / 8

/* tgbReg: glvw block id */
v_lshrrev_b32 v0, 0, v[vgprSerial]                 // v0 = v[vgprSerial] / 1
v_and_b32 v5, 31, v0                               // v5 = v0 % 32
                                                   // v5 = v5 * 1 (multiplier is 1, do nothing)
v_lshrrev_b32 v5, 3, v5                            // v5 = v5 / 8
v_lshlrev_b32 v3, 0x2, v3                          // v3 = v3 * 4
_v_add_co_u32 v5, vcc, v3, v5                      // tgbReg = (tid_coal * continOut) / GLVW
_v_sub_u32 v4, v4, v5                              // 

/* vwReg: glvw in which vw block? */
v_and_b32 v3, 0, v1                                // permute register between threads
v_lshrrev_b32 v3, 3, v3                            // permute register between threads

/* rReg : reminder of M_size % GlobalLoadVectorWidth */
v_and_b32 v5, 7, v1                                // v5 = v1 % 8
v_cmp_eq_u32 vcc, v5, 0x1                          // wgMT%VW == 1
s_cbranch_vccnz label_0029                         // branch to shift d1 r=1
v_cmp_eq_u32 vcc, v5, 0x2                          // wgMT%VW == 2
s_cbranch_vccnz label_0046                         // branch to shift d1 r=2
v_cmp_eq_u32 vcc, v5, 0x3                          // wgMT%VW == 3
s_cbranch_vccnz label_0063                         // branch to shift d1 r=3
v_cmp_eq_u32 vcc, v5, 0x4                          // wgMT%VW == 4
s_cbranch_vccnz label_0080                         // branch to shift d1 r=4
v_cmp_eq_u32 vcc, v5, 0x5                          // wgMT%VW == 5
s_cbranch_vccnz label_0097                         // branch to shift d1 r=5
v_cmp_eq_u32 vcc, v5, 0x6                          // wgMT%VW == 6
s_cbranch_vccnz label_0114                         // branch to shift d1 r=6
v_cmp_eq_u32 vcc, v5, 0x7                          // wgMT%VW == 7
s_cbranch_vccnz label_0131                         // branch to shift d1 r=7
s_branch label_0148                                // no shifting

/******************************************/
/* shift d1 r=1                           */
/******************************************/
label_0029:
v_cmp_eq_u32 vcc, v2, 0x0                          // 
s_cbranch_vccnz label_0030                         // branch to shift d1 r1 mb0
v_cmp_eq_u32 vcc, v2, 0x1                          // 
s_cbranch_vccnz label_0032                         // branch to shift d1 r1 mb1
v_cmp_eq_u32 vcc, v2, 0x2                          // 
s_cbranch_vccnz label_0034                         // branch to shift d1 r1 mb2
v_cmp_eq_u32 vcc, v2, 0x3                          // 
s_cbranch_vccnz label_0036                         // branch to shift d1 r1 mb3
v_cmp_eq_u32 vcc, v2, 0x4                          // 
s_cbranch_vccnz label_0038                         // branch to shift d1 r1 mb4
v_cmp_eq_u32 vcc, v2, 0x5                          // 
s_cbranch_vccnz label_0040                         // branch to shift d1 r1 mb5
v_cmp_eq_u32 vcc, v2, 0x6                          // 
s_cbranch_vccnz label_0042                         // branch to shift d1 r1 mb6
v_cmp_eq_u32 vcc, v2, 0x7                          // 
s_cbranch_vccnz label_0044                         // branch to shift d1 r1 mb7

/******************************************/
/* shift d1 r=2                           */
/******************************************/
label_0046:
v_cmp_eq_u32 vcc, v2, 0x0                          // 
s_cbranch_vccnz label_0047                         // branch to shift d1 r2 mb0
v_cmp_eq_u32 vcc, v2, 0x1                          // 
s_cbranch_vccnz label_0049                         // branch to shift d1 r2 mb1
v_cmp_eq_u32 vcc, v2, 0x2                          // 
s_cbranch_vccnz label_0051                         // branch to shift d1 r2 mb2
v_cmp_eq_u32 vcc, v2, 0x3                          // 
s_cbranch_vccnz label_0053                         // branch to shift d1 r2 mb3
v_cmp_eq_u32 vcc, v2, 0x4                          // 
s_cbranch_vccnz label_0055                         // branch to shift d1 r2 mb4
v_cmp_eq_u32 vcc, v2, 0x5                          // 
s_cbranch_vccnz label_0057                         // branch to shift d1 r2 mb5
v_cmp_eq_u32 vcc, v2, 0x6                          // 
s_cbranch_vccnz label_0059                         // branch to shift d1 r2 mb6
v_cmp_eq_u32 vcc, v2, 0x7                          // 
s_cbranch_vccnz label_0061                         // branch to shift d1 r2 mb7

/******************************************/
/* shift d1 r=3                           */
/******************************************/
label_0063:
v_cmp_eq_u32 vcc, v2, 0x0                          // 
s_cbranch_vccnz label_0064                         // branch to shift d1 r3 mb0
v_cmp_eq_u32 vcc, v2, 0x1                          // 
s_cbranch_vccnz label_0066                         // branch to shift d1 r3 mb1
v_cmp_eq_u32 vcc, v2, 0x2                          // 
s_cbranch_vccnz label_0068                         // branch to shift d1 r3 mb2
v_cmp_eq_u32 vcc, v2, 0x3                          // 
s_cbranch_vccnz label_0070                         // branch to shift d1 r3 mb3
v_cmp_eq_u32 vcc, v2, 0x4                          // 
s_cbranch_vccnz label_0072                         // branch to shift d1 r3 mb4
v_cmp_eq_u32 vcc, v2, 0x5                          // 
s_cbranch_vccnz label_0074                         // branch to shift d1 r3 mb5
v_cmp_eq_u32 vcc, v2, 0x6                          // 
s_cbranch_vccnz label_0076                         // branch to shift d1 r3 mb6
v_cmp_eq_u32 vcc, v2, 0x7                          // 
s_cbranch_vccnz label_0078                         // branch to shift d1 r3 mb7

/******************************************/
/* shift d1 r=4                           */
/******************************************/
label_0080:
v_cmp_eq_u32 vcc, v2, 0x0                          // 
s_cbranch_vccnz label_0081                         // branch to shift d1 r4 mb0
v_cmp_eq_u32 vcc, v2, 0x1                          // 
s_cbranch_vccnz label_0083                         // branch to shift d1 r4 mb1
v_cmp_eq_u32 vcc, v2, 0x2                          // 
s_cbranch_vccnz label_0085                         // branch to shift d1 r4 mb2
v_cmp_eq_u32 vcc, v2, 0x3                          // 
s_cbranch_vccnz label_0087                         // branch to shift d1 r4 mb3
v_cmp_eq_u32 vcc, v2, 0x4                          // 
s_cbranch_vccnz label_0089                         // branch to shift d1 r4 mb4
v_cmp_eq_u32 vcc, v2, 0x5                          // 
s_cbranch_vccnz label_0091                         // branch to shift d1 r4 mb5
v_cmp_eq_u32 vcc, v2, 0x6                          // 
s_cbranch_vccnz label_0093                         // branch to shift d1 r4 mb6
v_cmp_eq_u32 vcc, v2, 0x7                          // 
s_cbranch_vccnz label_0095                         // branch to shift d1 r4 mb7

/******************************************/
/* shift d1 r=5                           */
/******************************************/
label_0097:
v_cmp_eq_u32 vcc, v2, 0x0                          // 
s_cbranch_vccnz label_0098                         // branch to shift d1 r5 mb0
v_cmp_eq_u32 vcc, v2, 0x1                          // 
s_cbranch_vccnz label_0100                         // branch to shift d1 r5 mb1
v_cmp_eq_u32 vcc, v2, 0x2                          // 
s_cbranch_vccnz label_0102                         // branch to shift d1 r5 mb2
v_cmp_eq_u32 vcc, v2, 0x3                          // 
s_cbranch_vccnz label_0104                         // branch to shift d1 r5 mb3
v_cmp_eq_u32 vcc, v2, 0x4                          // 
s_cbranch_vccnz label_0106                         // branch to shift d1 r5 mb4
v_cmp_eq_u32 vcc, v2, 0x5                          // 
s_cbranch_vccnz label_0108                         // branch to shift d1 r5 mb5
v_cmp_eq_u32 vcc, v2, 0x6                          // 
s_cbranch_vccnz label_0110                         // branch to shift d1 r5 mb6
v_cmp_eq_u32 vcc, v2, 0x7                          // 
s_cbranch_vccnz label_0112                         // branch to shift d1 r5 mb7

/******************************************/
/* shift d1 r=6                           */
/******************************************/
label_0114:
v_cmp_eq_u32 vcc, v2, 0x0                          // 
s_cbranch_vccnz label_0115                         // branch to shift d1 r6 mb0
v_cmp_eq_u32 vcc, v2, 0x1                          // 
s_cbranch_vccnz label_0117                         // branch to shift d1 r6 mb1
v_cmp_eq_u32 vcc, v2, 0x2                          // 
s_cbranch_vccnz label_0119                         // branch to shift d1 r6 mb2
v_cmp_eq_u32 vcc, v2, 0x3                          // 
s_cbranch_vccnz label_0121                         // branch to shift d1 r6 mb3
v_cmp_eq_u32 vcc, v2, 0x4                          // 
s_cbranch_vccnz label_0123                         // branch to shift d1 r6 mb4
v_cmp_eq_u32 vcc, v2, 0x5                          // 
s_cbranch_vccnz label_0125                         // branch to shift d1 r6 mb5
v_cmp_eq_u32 vcc, v2, 0x6                          // 
s_cbranch_vccnz label_0127                         // branch to shift d1 r6 mb6
v_cmp_eq_u32 vcc, v2, 0x7                          // 
s_cbranch_vccnz label_0129                         // branch to shift d1 r6 mb7

/******************************************/
/* shift d1 r=7                           */
/******************************************/
label_0131:
v_cmp_eq_u32 vcc, v2, 0x0                          // 
s_cbranch_vccnz label_0132                         // branch to shift d1 r7 mb0
v_cmp_eq_u32 vcc, v2, 0x1                          // 
s_cbranch_vccnz label_0134                         // branch to shift d1 r7 mb1
v_cmp_eq_u32 vcc, v2, 0x2                          // 
s_cbranch_vccnz label_0136                         // branch to shift d1 r7 mb2
v_cmp_eq_u32 vcc, v2, 0x3                          // 
s_cbranch_vccnz label_0138                         // branch to shift d1 r7 mb3
v_cmp_eq_u32 vcc, v2, 0x4                          // 
s_cbranch_vccnz label_0140                         // branch to shift d1 r7 mb4
v_cmp_eq_u32 vcc, v2, 0x5                          // 
s_cbranch_vccnz label_0142                         // branch to shift d1 r7 mb5
v_cmp_eq_u32 vcc, v2, 0x6                          // 
s_cbranch_vccnz label_0144                         // branch to shift d1 r7 mb6
v_cmp_eq_u32 vcc, v2, 0x7                          // 
s_cbranch_vccnz label_0146                         // branch to shift d1 r7 mb7

/******************************************/
/* shift d1 r=1 mb=0                      */
/******************************************/
label_0030: // r1 mb0 
v_cmp_eq_u32 vcc, v3, 0x0                          // 
s_cbranch_vccnz label_0031                         // branch to shift d1 r1 mb0 vw0

/******************************************/
/* shift d1 r=1 mb=1                      */
/******************************************/
label_0032: // r1 mb1 
v_cmp_eq_u32 vcc, v3, 0x0                          // 
s_cbranch_vccnz label_0033                         // branch to shift d1 r1 mb1 vw0

/******************************************/
/* shift d1 r=1 mb=2                      */
/******************************************/
label_0034: // r1 mb2 
v_cmp_eq_u32 vcc, v3, 0x0                          // 
s_cbranch_vccnz label_0035                         // branch to shift d1 r1 mb2 vw0

/******************************************/
/* shift d1 r=1 mb=3                      */
/******************************************/
label_0036: // r1 mb3 
v_cmp_eq_u32 vcc, v3, 0x0                          // 
s_cbranch_vccnz label_0037                         // branch to shift d1 r1 mb3 vw0

/******************************************/
/* shift d1 r=1 mb=4                      */
/******************************************/
label_0038: // r1 mb4 
v_cmp_eq_u32 vcc, v3, 0x0                          // 
s_cbranch_vccnz label_0039                         // branch to shift d1 r1 mb4 vw0

/******************************************/
/* shift d1 r=1 mb=5                      */
/******************************************/
label_0040: // r1 mb5 
v_cmp_eq_u32 vcc, v3, 0x0                          // 
s_cbranch_vccnz label_0041                         // branch to shift d1 r1 mb5 vw0

/******************************************/
/* shift d1 r=1 mb=6                      */
/******************************************/
label_0042: // r1 mb6 
v_cmp_eq_u32 vcc, v3, 0x0                          // 
s_cbranch_vccnz label_0043                         // branch to shift d1 r1 mb6 vw0

/******************************************/
/* shift d1 r=1 mb=7                      */
/******************************************/
label_0044: // r1 mb7 
v_cmp_eq_u32 vcc, v3, 0x0                          // 
s_cbranch_vccnz label_0045                         // branch to shift d1 r1 mb7 vw0

/******************************************/
/* shift d1 r=2 mb=0                      */
/******************************************/
label_0047: // r2 mb0 
v_cmp_eq_u32 vcc, v3, 0x0                          // 
s_cbranch_vccnz label_0048                         // branch to shift d1 r2 mb0 vw0

/******************************************/
/* shift d1 r=2 mb=1                      */
/******************************************/
label_0049: // r2 mb1 
v_cmp_eq_u32 vcc, v3, 0x0                          // 
s_cbranch_vccnz label_0050                         // branch to shift d1 r2 mb1 vw0

/******************************************/
/* shift d1 r=2 mb=2                      */
/******************************************/
label_0051: // r2 mb2 
v_cmp_eq_u32 vcc, v3, 0x0                          // 
s_cbranch_vccnz label_0052                         // branch to shift d1 r2 mb2 vw0

/******************************************/
/* shift d1 r=2 mb=3                      */
/******************************************/
label_0053: // r2 mb3 
v_cmp_eq_u32 vcc, v3, 0x0                          // 
s_cbranch_vccnz label_0054                         // branch to shift d1 r2 mb3 vw0

/******************************************/
/* shift d1 r=2 mb=4                      */
/******************************************/
label_0055: // r2 mb4 
v_cmp_eq_u32 vcc, v3, 0x0                          // 
s_cbranch_vccnz label_0056                         // branch to shift d1 r2 mb4 vw0

/******************************************/
/* shift d1 r=2 mb=5                      */
/******************************************/
label_0057: // r2 mb5 
v_cmp_eq_u32 vcc, v3, 0x0                          // 
s_cbranch_vccnz label_0058                         // branch to shift d1 r2 mb5 vw0

/******************************************/
/* shift d1 r=2 mb=6                      */
/******************************************/
label_0059: // r2 mb6 
v_cmp_eq_u32 vcc, v3, 0x0                          // 
s_cbranch_vccnz label_0060                         // branch to shift d1 r2 mb6 vw0

/******************************************/
/* shift d1 r=2 mb=7                      */
/******************************************/
label_0061: // r2 mb7 
v_cmp_eq_u32 vcc, v3, 0x0                          // 
s_cbranch_vccnz label_0062                         // branch to shift d1 r2 mb7 vw0

/******************************************/
/* shift d1 r=3 mb=0                      */
/******************************************/
label_0064: // r3 mb0 
v_cmp_eq_u32 vcc, v3, 0x0                          // 
s_cbranch_vccnz label_0065                         // branch to shift d1 r3 mb0 vw0

/******************************************/
/* shift d1 r=3 mb=1                      */
/******************************************/
label_0066: // r3 mb1 
v_cmp_eq_u32 vcc, v3, 0x0                          // 
s_cbranch_vccnz label_0067                         // branch to shift d1 r3 mb1 vw0

/******************************************/
/* shift d1 r=3 mb=2                      */
/******************************************/
label_0068: // r3 mb2 
v_cmp_eq_u32 vcc, v3, 0x0                          // 
s_cbranch_vccnz label_0069                         // branch to shift d1 r3 mb2 vw0

/******************************************/
/* shift d1 r=3 mb=3                      */
/******************************************/
label_0070: // r3 mb3 
v_cmp_eq_u32 vcc, v3, 0x0                          // 
s_cbranch_vccnz label_0071                         // branch to shift d1 r3 mb3 vw0

/******************************************/
/* shift d1 r=3 mb=4                      */
/******************************************/
label_0072: // r3 mb4 
v_cmp_eq_u32 vcc, v3, 0x0                          // 
s_cbranch_vccnz label_0073                         // branch to shift d1 r3 mb4 vw0

/******************************************/
/* shift d1 r=3 mb=5                      */
/******************************************/
label_0074: // r3 mb5 
v_cmp_eq_u32 vcc, v3, 0x0                          // 
s_cbranch_vccnz label_0075                         // branch to shift d1 r3 mb5 vw0

/******************************************/
/* shift d1 r=3 mb=6                      */
/******************************************/
label_0076: // r3 mb6 
v_cmp_eq_u32 vcc, v3, 0x0                          // 
s_cbranch_vccnz label_0077                         // branch to shift d1 r3 mb6 vw0

/******************************************/
/* shift d1 r=3 mb=7                      */
/******************************************/
label_0078: // r3 mb7 
v_cmp_eq_u32 vcc, v3, 0x0                          // 
s_cbranch_vccnz label_0079                         // branch to shift d1 r3 mb7 vw0

/******************************************/
/* shift d1 r=4 mb=0                      */
/******************************************/
label_0081: // r4 mb0 
v_cmp_eq_u32 vcc, v3, 0x0                          // 
s_cbranch_vccnz label_0082                         // branch to shift d1 r4 mb0 vw0

/******************************************/
/* shift d1 r=4 mb=1                      */
/******************************************/
label_0083: // r4 mb1 
v_cmp_eq_u32 vcc, v3, 0x0                          // 
s_cbranch_vccnz label_0084                         // branch to shift d1 r4 mb1 vw0

/******************************************/
/* shift d1 r=4 mb=2                      */
/******************************************/
label_0085: // r4 mb2 
v_cmp_eq_u32 vcc, v3, 0x0                          // 
s_cbranch_vccnz label_0086                         // branch to shift d1 r4 mb2 vw0

/******************************************/
/* shift d1 r=4 mb=3                      */
/******************************************/
label_0087: // r4 mb3 
v_cmp_eq_u32 vcc, v3, 0x0                          // 
s_cbranch_vccnz label_0088                         // branch to shift d1 r4 mb3 vw0

/******************************************/
/* shift d1 r=4 mb=4                      */
/******************************************/
label_0089: // r4 mb4 
v_cmp_eq_u32 vcc, v3, 0x0                          // 
s_cbranch_vccnz label_0090                         // branch to shift d1 r4 mb4 vw0

/******************************************/
/* shift d1 r=4 mb=5                      */
/******************************************/
label_0091: // r4 mb5 
v_cmp_eq_u32 vcc, v3, 0x0                          // 
s_cbranch_vccnz label_0092                         // branch to shift d1 r4 mb5 vw0

/******************************************/
/* shift d1 r=4 mb=6                      */
/******************************************/
label_0093: // r4 mb6 
v_cmp_eq_u32 vcc, v3, 0x0                          // 
s_cbranch_vccnz label_0094                         // branch to shift d1 r4 mb6 vw0

/******************************************/
/* shift d1 r=4 mb=7                      */
/******************************************/
label_0095: // r4 mb7 
v_cmp_eq_u32 vcc, v3, 0x0                          // 
s_cbranch_vccnz label_0096                         // branch to shift d1 r4 mb7 vw0

/******************************************/
/* shift d1 r=5 mb=0                      */
/******************************************/
label_0098: // r5 mb0 
v_cmp_eq_u32 vcc, v3, 0x0                          // 
s_cbranch_vccnz label_0099                         // branch to shift d1 r5 mb0 vw0

/******************************************/
/* shift d1 r=5 mb=1                      */
/******************************************/
label_0100: // r5 mb1 
v_cmp_eq_u32 vcc, v3, 0x0                          // 
s_cbranch_vccnz label_0101                         // branch to shift d1 r5 mb1 vw0

/******************************************/
/* shift d1 r=5 mb=2                      */
/******************************************/
label_0102: // r5 mb2 
v_cmp_eq_u32 vcc, v3, 0x0                          // 
s_cbranch_vccnz label_0103                         // branch to shift d1 r5 mb2 vw0

/******************************************/
/* shift d1 r=5 mb=3                      */
/******************************************/
label_0104: // r5 mb3 
v_cmp_eq_u32 vcc, v3, 0x0                          // 
s_cbranch_vccnz label_0105                         // branch to shift d1 r5 mb3 vw0

/******************************************/
/* shift d1 r=5 mb=4                      */
/******************************************/
label_0106: // r5 mb4 
v_cmp_eq_u32 vcc, v3, 0x0                          // 
s_cbranch_vccnz label_0107                         // branch to shift d1 r5 mb4 vw0

/******************************************/
/* shift d1 r=5 mb=5                      */
/******************************************/
label_0108: // r5 mb5 
v_cmp_eq_u32 vcc, v3, 0x0                          // 
s_cbranch_vccnz label_0109                         // branch to shift d1 r5 mb5 vw0

/******************************************/
/* shift d1 r=5 mb=6                      */
/******************************************/
label_0110: // r5 mb6 
v_cmp_eq_u32 vcc, v3, 0x0                          // 
s_cbranch_vccnz label_0111                         // branch to shift d1 r5 mb6 vw0

/******************************************/
/* shift d1 r=5 mb=7                      */
/******************************************/
label_0112: // r5 mb7 
v_cmp_eq_u32 vcc, v3, 0x0                          // 
s_cbranch_vccnz label_0113                         // branch to shift d1 r5 mb7 vw0

/******************************************/
/* shift d1 r=6 mb=0                      */
/******************************************/
label_0115: // r6 mb0 
v_cmp_eq_u32 vcc, v3, 0x0                          // 
s_cbranch_vccnz label_0116                         // branch to shift d1 r6 mb0 vw0

/******************************************/
/* shift d1 r=6 mb=1                      */
/******************************************/
label_0117: // r6 mb1 
v_cmp_eq_u32 vcc, v3, 0x0                          // 
s_cbranch_vccnz label_0118                         // branch to shift d1 r6 mb1 vw0

/******************************************/
/* shift d1 r=6 mb=2                      */
/******************************************/
label_0119: // r6 mb2 
v_cmp_eq_u32 vcc, v3, 0x0                          // 
s_cbranch_vccnz label_0120                         // branch to shift d1 r6 mb2 vw0

/******************************************/
/* shift d1 r=6 mb=3                      */
/******************************************/
label_0121: // r6 mb3 
v_cmp_eq_u32 vcc, v3, 0x0                          // 
s_cbranch_vccnz label_0122                         // branch to shift d1 r6 mb3 vw0

/******************************************/
/* shift d1 r=6 mb=4                      */
/******************************************/
label_0123: // r6 mb4 
v_cmp_eq_u32 vcc, v3, 0x0                          // 
s_cbranch_vccnz label_0124                         // branch to shift d1 r6 mb4 vw0

/******************************************/
/* shift d1 r=6 mb=5                      */
/******************************************/
label_0125: // r6 mb5 
v_cmp_eq_u32 vcc, v3, 0x0                          // 
s_cbranch_vccnz label_0126                         // branch to shift d1 r6 mb5 vw0

/******************************************/
/* shift d1 r=6 mb=6                      */
/******************************************/
label_0127: // r6 mb6 
v_cmp_eq_u32 vcc, v3, 0x0                          // 
s_cbranch_vccnz label_0128                         // branch to shift d1 r6 mb6 vw0

/******************************************/
/* shift d1 r=6 mb=7                      */
/******************************************/
label_0129: // r6 mb7 
v_cmp_eq_u32 vcc, v3, 0x0                          // 
s_cbranch_vccnz label_0130                         // branch to shift d1 r6 mb7 vw0

/******************************************/
/* shift d1 r=7 mb=0                      */
/******************************************/
label_0132: // r7 mb0 
v_cmp_eq_u32 vcc, v3, 0x0                          // 
s_cbranch_vccnz label_0133                         // branch to shift d1 r7 mb0 vw0

/******************************************/
/* shift d1 r=7 mb=1                      */
/******************************************/
label_0134: // r7 mb1 
v_cmp_eq_u32 vcc, v3, 0x0                          // 
s_cbranch_vccnz label_0135                         // branch to shift d1 r7 mb1 vw0

/******************************************/
/* shift d1 r=7 mb=2                      */
/******************************************/
label_0136: // r7 mb2 
v_cmp_eq_u32 vcc, v3, 0x0                          // 
s_cbranch_vccnz label_0137                         // branch to shift d1 r7 mb2 vw0

/******************************************/
/* shift d1 r=7 mb=3                      */
/******************************************/
label_0138: // r7 mb3 
v_cmp_eq_u32 vcc, v3, 0x0                          // 
s_cbranch_vccnz label_0139                         // branch to shift d1 r7 mb3 vw0

/******************************************/
/* shift d1 r=7 mb=4                      */
/******************************************/
label_0140: // r7 mb4 
v_cmp_eq_u32 vcc, v3, 0x0                          // 
s_cbranch_vccnz label_0141                         // branch to shift d1 r7 mb4 vw0

/******************************************/
/* shift d1 r=7 mb=5                      */
/******************************************/
label_0142: // r7 mb5 
v_cmp_eq_u32 vcc, v3, 0x0                          // 
s_cbranch_vccnz label_0143                         // branch to shift d1 r7 mb5 vw0

/******************************************/
/* shift d1 r=7 mb=6                      */
/******************************************/
label_0144: // r7 mb6 
v_cmp_eq_u32 vcc, v3, 0x0                          // 
s_cbranch_vccnz label_0145                         // branch to shift d1 r7 mb6 vw0

/******************************************/
/* shift d1 r=7 mb=7                      */
/******************************************/
label_0146: // r7 mb7 
v_cmp_eq_u32 vcc, v3, 0x0                          // 
s_cbranch_vccnz label_0147                         // branch to shift d1 r7 mb7 vw0

/******************************************/
/* shift d1 r=1 mb=0 vw0                  */
/******************************************/
label_0031: // r1 mb0 vw0 
s_mov_b32 s32, 0                                   // 
_v_cmpx_eq_u32 s[32:33], v4, s32                   // is thread in edge glvw region
v_and_b32 v0, 63, v[vgprSerial]                    // permute register between threads
v_lshlrev_b32 v0, 2, v0                            // permute register between threads
v_accvgpr_read_b32 v5, acc0                        // glvw 1 mb 0 tt1 0 r 0
s_nop 1                                            // v_accvgpr read vgpr after write vgpr: 2 wait states
ds_bpermute_b32 v5, v0, v5, offset:28              // permute edge values
s_waitcnt 0                                        // wait for swizzle operation
v_accvgpr_write_b32 acc0, v5                       // 
v_accvgpr_read_b32 v5, acc1                        // glvw 1 mb 0 tt1 1 r 0
s_nop 1                                            // v_accvgpr read vgpr after write vgpr: 2 wait states
ds_bpermute_b32 v5, v0, v5, offset:28              // permute edge values
s_waitcnt 0                                        // wait for swizzle operation
v_accvgpr_write_b32 acc1, v5                       // 
v_accvgpr_read_b32 v5, acc2                        // glvw 1 mb 0 tt1 2 r 0
s_nop 1                                            // v_accvgpr read vgpr after write vgpr: 2 wait states
ds_bpermute_b32 v5, v0, v5, offset:28              // permute edge values
s_waitcnt 0                                        // wait for swizzle operation
v_accvgpr_write_b32 acc2, v5                       // 
v_accvgpr_read_b32 v5, acc3                        // glvw 1 mb 0 tt1 3 r 0
s_nop 1                                            // v_accvgpr read vgpr after write vgpr: 2 wait states
ds_bpermute_b32 v5, v0, v5, offset:28              // permute edge values
s_waitcnt 0                                        // wait for swizzle operation
v_accvgpr_write_b32 acc3, v5                       // 
v_accvgpr_read_b32 v5, acc4                        // glvw 1 mb 0 tt1 4 r 0
s_nop 1                                            // v_accvgpr read vgpr after write vgpr: 2 wait states
ds_bpermute_b32 v5, v0, v5, offset:28              // permute edge values
s_waitcnt 0                                        // wait for swizzle operation
v_accvgpr_write_b32 acc4, v5                       // 
v_accvgpr_read_b32 v5, acc5                        // glvw 1 mb 0 tt1 5 r 0
s_nop 1                                            // v_accvgpr read vgpr after write vgpr: 2 wait states
ds_bpermute_b32 v5, v0, v5, offset:28              // permute edge values
s_waitcnt 0                                        // wait for swizzle operation
v_accvgpr_write_b32 acc5, v5                       // 
v_accvgpr_read_b32 v5, acc6                        // glvw 1 mb 0 tt1 6 r 0
s_nop 1                                            // v_accvgpr read vgpr after write vgpr: 2 wait states
ds_bpermute_b32 v5, v0, v5, offset:28              // permute edge values
s_waitcnt 0                                        // wait for swizzle operation
v_accvgpr_write_b32 acc6, v5                       // 
v_accvgpr_read_b32 v5, acc7                        // glvw 1 mb 0 tt1 7 r 0
s_nop 1                                            // v_accvgpr read vgpr after write vgpr: 2 wait states
ds_bpermute_b32 v5, v0, v5, offset:28              // permute edge values
s_waitcnt 0                                        // wait for swizzle operation
v_accvgpr_write_b32 acc7, v5                       // 
v_accvgpr_read_b32 v5, acc8                        // glvw 1 mb 0 tt1 8 r 0
s_nop 1                                            // v_accvgpr read vgpr after write vgpr: 2 wait states
ds_bpermute_b32 v5, v0, v5, offset:28              // permute edge values
s_waitcnt 0                                        // wait for swizzle operation
v_accvgpr_write_b32 acc8, v5                       // 
v_accvgpr_read_b32 v5, acc9                        // glvw 1 mb 0 tt1 9 r 0
s_nop 1                                            // v_accvgpr read vgpr after write vgpr: 2 wait states
ds_bpermute_b32 v5, v0, v5, offset:28              // permute edge values
s_waitcnt 0                                        // wait for swizzle operation
v_accvgpr_write_b32 acc9, v5                       // 
v_accvgpr_read_b32 v5, acc10                       // glvw 1 mb 0 tt1 10 r 0
s_nop 1                                            // v_accvgpr read vgpr after write vgpr: 2 wait states
ds_bpermute_b32 v5, v0, v5, offset:28              // permute edge values
s_waitcnt 0                                        // wait for swizzle operation
v_accvgpr_write_b32 acc10, v5                      // 
v_accvgpr_read_b32 v5, acc11                       // glvw 1 mb 0 tt1 11 r 0
s_nop 1                                            // v_accvgpr read vgpr after write vgpr: 2 wait states
ds_bpermute_b32 v5, v0, v5, offset:28              // permute edge values
s_waitcnt 0                                        // wait for swizzle operation
v_accvgpr_write_b32 acc11, v5                      // 
v_accvgpr_read_b32 v5, acc12                       // glvw 1 mb 0 tt1 12 r 0
s_nop 1                                            // v_accvgpr read vgpr after write vgpr: 2 wait states
ds_bpermute_b32 v5, v0, v5, offset:28              // permute edge values
s_waitcnt 0                                        // wait for swizzle operation
v_accvgpr_write_b32 acc12, v5                      // 
v_accvgpr_read_b32 v5, acc13                       // glvw 1 mb 0 tt1 13 r 0
s_nop 1                                            // v_accvgpr read vgpr after write vgpr: 2 wait states
ds_bpermute_b32 v5, v0, v5, offset:28              // permute edge values
s_waitcnt 0                                        // wait for swizzle operation
v_accvgpr_write_b32 acc13, v5                      // 
v_accvgpr_read_b32 v5, acc14                       // glvw 1 mb 0 tt1 14 r 0
s_nop 1                                            // v_accvgpr read vgpr after write vgpr: 2 wait states
ds_bpermute_b32 v5, v0, v5, offset:28              // permute edge values
s_waitcnt 0                                        // wait for swizzle operation
v_accvgpr_write_b32 acc14, v5                      // 
v_accvgpr_read_b32 v5, acc15                       // glvw 1 mb 0 tt1 15 r 0
s_nop 1                                            // v_accvgpr read vgpr after write vgpr: 2 wait states
ds_bpermute_b32 v5, v0, v5, offset:28              // permute edge values
s_waitcnt 0                                        // wait for swizzle operation
v_accvgpr_write_b32 acc15, v5                      // 
v_accvgpr_read_b32 v5, acc16                       // glvw 1 mb 0 tt1 16 r 0
s_nop 1                                            // v_accvgpr read vgpr after write vgpr: 2 wait states
ds_bpermute_b32 v5, v0, v5, offset:28              // permute edge values
s_waitcnt 0                                        // wait for swizzle operation
v_accvgpr_write_b32 acc16, v5                      // 
v_accvgpr_read_b32 v5, acc17                       // glvw 1 mb 0 tt1 17 r 0
s_nop 1                                            // v_accvgpr read vgpr after write vgpr: 2 wait states
ds_bpermute_b32 v5, v0, v5, offset:28              // permute edge values
s_waitcnt 0                                        // wait for swizzle operation
v_accvgpr_write_b32 acc17, v5                      // 
v_accvgpr_read_b32 v5, acc18                       // glvw 1 mb 0 tt1 18 r 0
s_nop 1                                            // v_accvgpr read vgpr after write vgpr: 2 wait states
ds_bpermute_b32 v5, v0, v5, offset:28              // permute edge values
s_waitcnt 0                                        // wait for swizzle operation
v_accvgpr_write_b32 acc18, v5                      // 
v_accvgpr_read_b32 v5, acc19                       // glvw 1 mb 0 tt1 19 r 0
s_nop 1                                            // v_accvgpr read vgpr after write vgpr: 2 wait states
ds_bpermute_b32 v5, v0, v5, offset:28              // permute edge values
s_waitcnt 0                                        // wait for swizzle operation
v_accvgpr_write_b32 acc19, v5                      // 
v_accvgpr_read_b32 v5, acc20                       // glvw 1 mb 0 tt1 20 r 0
s_nop 1                                            // v_accvgpr read vgpr after write vgpr: 2 wait states
ds_bpermute_b32 v5, v0, v5, offset:28              // permute edge values
s_waitcnt 0                                        // wait for swizzle operation
v_accvgpr_write_b32 acc20, v5                      // 
v_accvgpr_read_b32 v5, acc21                       // glvw 1 mb 0 tt1 21 r 0
s_nop 1                                            // v_accvgpr read vgpr after write vgpr: 2 wait states
ds_bpermute_b32 v5, v0, v5, offset:28              // permute edge values
s_waitcnt 0                                        // wait for swizzle operation
v_accvgpr_write_b32 acc21, v5                      // 
v_accvgpr_read_b32 v5, acc22                       // glvw 1 mb 0 tt1 22 r 0
s_nop 1                                            // v_accvgpr read vgpr after write vgpr: 2 wait states
ds_bpermute_b32 v5, v0, v5, offset:28              // permute edge values
s_waitcnt 0                                        // wait for swizzle operation
v_accvgpr_write_b32 acc22, v5                      // 
v_accvgpr_read_b32 v5, acc23                       // glvw 1 mb 0 tt1 23 r 0
s_nop 1                                            // v_accvgpr read vgpr after write vgpr: 2 wait states
ds_bpermute_b32 v5, v0, v5, offset:28              // permute edge values
s_waitcnt 0                                        // wait for swizzle operation
v_accvgpr_write_b32 acc23, v5                      // 
v_accvgpr_read_b32 v5, acc24                       // glvw 1 mb 0 tt1 24 r 0
s_nop 1                                            // v_accvgpr read vgpr after write vgpr: 2 wait states
ds_bpermute_b32 v5, v0, v5, offset:28              // permute edge values
s_waitcnt 0                                        // wait for swizzle operation
v_accvgpr_write_b32 acc24, v5                      // 
v_accvgpr_read_b32 v5, acc25                       // glvw 1 mb 0 tt1 25 r 0
s_nop 1                                            // v_accvgpr read vgpr after write vgpr: 2 wait states
ds_bpermute_b32 v5, v0, v5, offset:28              // permute edge values
s_waitcnt 0                                        // wait for swizzle operation
v_accvgpr_write_b32 acc25, v5                      // 
v_accvgpr_read_b32 v5, acc26                       // glvw 1 mb 0 tt1 26 r 0
s_nop 1                                            // v_accvgpr read vgpr after write vgpr: 2 wait states
ds_bpermute_b32 v5, v0, v5, offset:28              // permute edge values
s_waitcnt 0                                        // wait for swizzle operation
v_accvgpr_write_b32 acc26, v5                      // 
v_accvgpr_read_b32 v5, acc27                       // glvw 1 mb 0 tt1 27 r 0
s_nop 1                                            // v_accvgpr read vgpr after write vgpr: 2 wait states
ds_bpermute_b32 v5, v0, v5, offset:28              // permute edge values
s_waitcnt 0                                        // wait for swizzle operation
v_accvgpr_write_b32 acc27, v5                      // 
v_accvgpr_read_b32 v5, acc28                       // glvw 1 mb 0 tt1 28 r 0
s_nop 1                                            // v_accvgpr read vgpr after write vgpr: 2 wait states
ds_bpermute_b32 v5, v0, v5, offset:28              // permute edge values
s_waitcnt 0                                        // wait for swizzle operation
v_accvgpr_write_b32 acc28, v5                      // 
v_accvgpr_read_b32 v5, acc29                       // glvw 1 mb 0 tt1 29 r 0
s_nop 1                                            // v_accvgpr read vgpr after write vgpr: 2 wait states
ds_bpermute_b32 v5, v0, v5, offset:28              // permute edge values
s_waitcnt 0                                        // wait for swizzle operation
v_accvgpr_write_b32 acc29, v5                      // 
v_accvgpr_read_b32 v5, acc30                       // glvw 1 mb 0 tt1 30 r 0
s_nop 1                                            // v_accvgpr read vgpr after write vgpr: 2 wait states
ds_bpermute_b32 v5, v0, v5, offset:28              // permute edge values
s_waitcnt 0                                        // wait for swizzle operation
v_accvgpr_write_b32 acc30, v5                      // 
v_accvgpr_read_b32 v5, acc31                       // glvw 1 mb 0 tt1 31 r 0
s_nop 1                                            // v_accvgpr read vgpr after write vgpr: 2 wait states
ds_bpermute_b32 v5, v0, v5, offset:28              // permute edge values
s_waitcnt 0                                        // wait for swizzle operation
v_accvgpr_write_b32 acc31, v5                      // 
s_mov_b64 s[32:33], 0xFFFFFFFFFFFFFFFF             // to restore all threads active
s_or_saveexec_b64 vcc, s[32:33]                    // all threads active
s_branch label_0148                                // done shifting


/******************************************/
/* shift d1 r=1 mb=1 vw0                  */
/******************************************/
label_0033: // r1 mb1 vw0 
s_mov_b32 s32, 4                                   // 
_v_cmpx_eq_u32 s[32:33], v4, s32                   // is thread in edge glvw region
v_and_b32 v0, 63, v[vgprSerial]                    // permute register between threads
v_lshlrev_b32 v0, 2, v0                            // permute register between threads
v_accvgpr_read_b32 v5, acc32                       // glvw 1 mb 1 tt1 0 r 0
s_nop 1                                            // v_accvgpr read vgpr after write vgpr: 2 wait states
ds_bpermute_b32 v5, v0, v5, offset:28              // permute edge values
s_waitcnt 0                                        // wait for swizzle operation
v_accvgpr_write_b32 acc32, v5                      // 
v_accvgpr_read_b32 v5, acc33                       // glvw 1 mb 1 tt1 1 r 0
s_nop 1                                            // v_accvgpr read vgpr after write vgpr: 2 wait states
ds_bpermute_b32 v5, v0, v5, offset:28              // permute edge values
s_waitcnt 0                                        // wait for swizzle operation
v_accvgpr_write_b32 acc33, v5                      // 
v_accvgpr_read_b32 v5, acc34                       // glvw 1 mb 1 tt1 2 r 0
s_nop 1                                            // v_accvgpr read vgpr after write vgpr: 2 wait states
ds_bpermute_b32 v5, v0, v5, offset:28              // permute edge values
s_waitcnt 0                                        // wait for swizzle operation
v_accvgpr_write_b32 acc34, v5                      // 
v_accvgpr_read_b32 v5, acc35                       // glvw 1 mb 1 tt1 3 r 0
s_nop 1                                            // v_accvgpr read vgpr after write vgpr: 2 wait states
ds_bpermute_b32 v5, v0, v5, offset:28              // permute edge values
s_waitcnt 0                                        // wait for swizzle operation
v_accvgpr_write_b32 acc35, v5                      // 
v_accvgpr_read_b32 v5, acc36                       // glvw 1 mb 1 tt1 4 r 0
s_nop 1                                            // v_accvgpr read vgpr after write vgpr: 2 wait states
ds_bpermute_b32 v5, v0, v5, offset:28              // permute edge values
s_waitcnt 0                                        // wait for swizzle operation
v_accvgpr_write_b32 acc36, v5                      // 
v_accvgpr_read_b32 v5, acc37                       // glvw 1 mb 1 tt1 5 r 0
s_nop 1                                            // v_accvgpr read vgpr after write vgpr: 2 wait states
ds_bpermute_b32 v5, v0, v5, offset:28              // permute edge values
s_waitcnt 0                                        // wait for swizzle operation
v_accvgpr_write_b32 acc37, v5                      // 
v_accvgpr_read_b32 v5, acc38                       // glvw 1 mb 1 tt1 6 r 0
s_nop 1                                            // v_accvgpr read vgpr after write vgpr: 2 wait states
ds_bpermute_b32 v5, v0, v5, offset:28              // permute edge values
s_waitcnt 0                                        // wait for swizzle operation
v_accvgpr_write_b32 acc38, v5                      // 
v_accvgpr_read_b32 v5, acc39                       // glvw 1 mb 1 tt1 7 r 0
s_nop 1                                            // v_accvgpr read vgpr after write vgpr: 2 wait states
ds_bpermute_b32 v5, v0, v5, offset:28              // permute edge values
s_waitcnt 0                                        // wait for swizzle operation
v_accvgpr_write_b32 acc39, v5                      // 
v_accvgpr_read_b32 v5, acc40                       // glvw 1 mb 1 tt1 8 r 0
s_nop 1                                            // v_accvgpr read vgpr after write vgpr: 2 wait states
ds_bpermute_b32 v5, v0, v5, offset:28              // permute edge values
s_waitcnt 0                                        // wait for swizzle operation
v_accvgpr_write_b32 acc40, v5                      // 
v_accvgpr_read_b32 v5, acc41                       // glvw 1 mb 1 tt1 9 r 0
s_nop 1                                            // v_accvgpr read vgpr after write vgpr: 2 wait states
ds_bpermute_b32 v5, v0, v5, offset:28              // permute edge values
s_waitcnt 0                                        // wait for swizzle operation
v_accvgpr_write_b32 acc41, v5                      // 
v_accvgpr_read_b32 v5, acc42                       // glvw 1 mb 1 tt1 10 r 0
s_nop 1                                            // v_accvgpr read vgpr after write vgpr: 2 wait states
ds_bpermute_b32 v5, v0, v5, offset:28              // permute edge values
s_waitcnt 0                                        // wait for swizzle operation
v_accvgpr_write_b32 acc42, v5                      // 
v_accvgpr_read_b32 v5, acc43                       // glvw 1 mb 1 tt1 11 r 0
s_nop 1                                            // v_accvgpr read vgpr after write vgpr: 2 wait states
ds_bpermute_b32 v5, v0, v5, offset:28              // permute edge values
s_waitcnt 0                                        // wait for swizzle operation
v_accvgpr_write_b32 acc43, v5                      // 
v_accvgpr_read_b32 v5, acc44                       // glvw 1 mb 1 tt1 12 r 0
s_nop 1                                            // v_accvgpr read vgpr after write vgpr: 2 wait states
ds_bpermute_b32 v5, v0, v5, offset:28              // permute edge values
s_waitcnt 0                                        // wait for swizzle operation
v_accvgpr_write_b32 acc44, v5                      // 
v_accvgpr_read_b32 v5, acc45                       // glvw 1 mb 1 tt1 13 r 0
s_nop 1                                            // v_accvgpr read vgpr after write vgpr: 2 wait states
ds_bpermute_b32 v5, v0, v5, offset:28              // permute edge values
s_waitcnt 0                                        // wait for swizzle operation
v_accvgpr_write_b32 acc45, v5                      // 
v_accvgpr_read_b32 v5, acc46                       // glvw 1 mb 1 tt1 14 r 0
s_nop 1                                            // v_accvgpr read vgpr after write vgpr: 2 wait states
ds_bpermute_b32 v5, v0, v5, offset:28              // permute edge values
s_waitcnt 0                                        // wait for swizzle operation
v_accvgpr_write_b32 acc46, v5                      // 
v_accvgpr_read_b32 v5, acc47                       // glvw 1 mb 1 tt1 15 r 0
s_nop 1                                            // v_accvgpr read vgpr after write vgpr: 2 wait states
ds_bpermute_b32 v5, v0, v5, offset:28              // permute edge values
s_waitcnt 0                                        // wait for swizzle operation
v_accvgpr_write_b32 acc47, v5                      // 
v_accvgpr_read_b32 v5, acc48                       // glvw 1 mb 1 tt1 16 r 0
s_nop 1                                            // v_accvgpr read vgpr after write vgpr: 2 wait states
ds_bpermute_b32 v5, v0, v5, offset:28              // permute edge values
s_waitcnt 0                                        // wait for swizzle operation
v_accvgpr_write_b32 acc48, v5                      // 
v_accvgpr_read_b32 v5, acc49                       // glvw 1 mb 1 tt1 17 r 0
s_nop 1                                            // v_accvgpr read vgpr after write vgpr: 2 wait states
ds_bpermute_b32 v5, v0, v5, offset:28              // permute edge values
s_waitcnt 0                                        // wait for swizzle operation
v_accvgpr_write_b32 acc49, v5                      // 
v_accvgpr_read_b32 v5, acc50                       // glvw 1 mb 1 tt1 18 r 0
s_nop 1                                            // v_accvgpr read vgpr after write vgpr: 2 wait states
ds_bpermute_b32 v5, v0, v5, offset:28              // permute edge values
s_waitcnt 0                                        // wait for swizzle operation
v_accvgpr_write_b32 acc50, v5                      // 
v_accvgpr_read_b32 v5, acc51                       // glvw 1 mb 1 tt1 19 r 0
s_nop 1                                            // v_accvgpr read vgpr after write vgpr: 2 wait states
ds_bpermute_b32 v5, v0, v5, offset:28              // permute edge values
s_waitcnt 0                                        // wait for swizzle operation
v_accvgpr_write_b32 acc51, v5                      // 
v_accvgpr_read_b32 v5, acc52                       // glvw 1 mb 1 tt1 20 r 0
s_nop 1                                            // v_accvgpr read vgpr after write vgpr: 2 wait states
ds_bpermute_b32 v5, v0, v5, offset:28              // permute edge values
s_waitcnt 0                                        // wait for swizzle operation
v_accvgpr_write_b32 acc52, v5                      // 
v_accvgpr_read_b32 v5, acc53                       // glvw 1 mb 1 tt1 21 r 0
s_nop 1                                            // v_accvgpr read vgpr after write vgpr: 2 wait states
ds_bpermute_b32 v5, v0, v5, offset:28              // permute edge values
s_waitcnt 0                                        // wait for swizzle operation
v_accvgpr_write_b32 acc53, v5                      // 
v_accvgpr_read_b32 v5, acc54                       // glvw 1 mb 1 tt1 22 r 0
s_nop 1                                            // v_accvgpr read vgpr after write vgpr: 2 wait states
ds_bpermute_b32 v5, v0, v5, offset:28              // permute edge values
s_waitcnt 0                                        // wait for swizzle operation
v_accvgpr_write_b32 acc54, v5                      // 
v_accvgpr_read_b32 v5, acc55                       // glvw 1 mb 1 tt1 23 r 0
s_nop 1                                            // v_accvgpr read vgpr after write vgpr: 2 wait states
ds_bpermute_b32 v5, v0, v5, offset:28              // permute edge values
s_waitcnt 0                                        // wait for swizzle operation
v_accvgpr_write_b32 acc55, v5                      // 
v_accvgpr_read_b32 v5, acc56                       // glvw 1 mb 1 tt1 24 r 0
s_nop 1                                            // v_accvgpr read vgpr after write vgpr: 2 wait states
ds_bpermute_b32 v5, v0, v5, offset:28              // permute edge values
s_waitcnt 0                                        // wait for swizzle operation
v_accvgpr_write_b32 acc56, v5                      // 
v_accvgpr_read_b32 v5, acc57                       // glvw 1 mb 1 tt1 25 r 0
s_nop 1                                            // v_accvgpr read vgpr after write vgpr: 2 wait states
ds_bpermute_b32 v5, v0, v5, offset:28              // permute edge values
s_waitcnt 0                                        // wait for swizzle operation
v_accvgpr_write_b32 acc57, v5                      // 
v_accvgpr_read_b32 v5, acc58                       // glvw 1 mb 1 tt1 26 r 0
s_nop 1                                            // v_accvgpr read vgpr after write vgpr: 2 wait states
ds_bpermute_b32 v5, v0, v5, offset:28              // permute edge values
s_waitcnt 0                                        // wait for swizzle operation
v_accvgpr_write_b32 acc58, v5                      // 
v_accvgpr_read_b32 v5, acc59                       // glvw 1 mb 1 tt1 27 r 0
s_nop 1                                            // v_accvgpr read vgpr after write vgpr: 2 wait states
ds_bpermute_b32 v5, v0, v5, offset:28              // permute edge values
s_waitcnt 0                                        // wait for swizzle operation
v_accvgpr_write_b32 acc59, v5                      // 
v_accvgpr_read_b32 v5, acc60                       // glvw 1 mb 1 tt1 28 r 0
s_nop 1                                            // v_accvgpr read vgpr after write vgpr: 2 wait states
ds_bpermute_b32 v5, v0, v5, offset:28              // permute edge values
s_waitcnt 0                                        // wait for swizzle operation
v_accvgpr_write_b32 acc60, v5                      // 
v_accvgpr_read_b32 v5, acc61                       // glvw 1 mb 1 tt1 29 r 0
s_nop 1                                            // v_accvgpr read vgpr after write vgpr: 2 wait states
ds_bpermute_b32 v5, v0, v5, offset:28              // permute edge values
s_waitcnt 0                                        // wait for swizzle operation
v_accvgpr_write_b32 acc61, v5                      // 
v_accvgpr_read_b32 v5, acc62                       // glvw 1 mb 1 tt1 30 r 0
s_nop 1                                            // v_accvgpr read vgpr after write vgpr: 2 wait states
ds_bpermute_b32 v5, v0, v5, offset:28              // permute edge values
s_waitcnt 0                                        // wait for swizzle operation
v_accvgpr_write_b32 acc62, v5                      // 
v_accvgpr_read_b32 v5, acc63                       // glvw 1 mb 1 tt1 31 r 0
s_nop 1                                            // v_accvgpr read vgpr after write vgpr: 2 wait states
ds_bpermute_b32 v5, v0, v5, offset:28              // permute edge values
s_waitcnt 0                                        // wait for swizzle operation
v_accvgpr_write_b32 acc63, v5                      // 
s_mov_b64 s[32:33], 0xFFFFFFFFFFFFFFFF             // to restore all threads active
s_or_saveexec_b64 vcc, s[32:33]                    // all threads active
s_branch label_0148                                // done shifting


/******************************************/
/* shift d1 r=1 mb=2 vw0                  */
/******************************************/
label_0035: // r1 mb2 vw0 
s_mov_b32 s32, 8                                   // 
_v_cmpx_eq_u32 s[32:33], v4, s32                   // is thread in edge glvw region
v_and_b32 v0, 63, v[vgprSerial]                    // permute register between threads
v_lshlrev_b32 v0, 2, v0                            // permute register between threads
v_accvgpr_read_b32 v5, acc64                       // glvw 1 mb 2 tt1 0 r 0
s_nop 1                                            // v_accvgpr read vgpr after write vgpr: 2 wait states
ds_bpermute_b32 v5, v0, v5, offset:28              // permute edge values
s_waitcnt 0                                        // wait for swizzle operation
v_accvgpr_write_b32 acc64, v5                      // 
v_accvgpr_read_b32 v5, acc65                       // glvw 1 mb 2 tt1 1 r 0
s_nop 1                                            // v_accvgpr read vgpr after write vgpr: 2 wait states
ds_bpermute_b32 v5, v0, v5, offset:28              // permute edge values
s_waitcnt 0                                        // wait for swizzle operation
v_accvgpr_write_b32 acc65, v5                      // 
v_accvgpr_read_b32 v5, acc66                       // glvw 1 mb 2 tt1 2 r 0
s_nop 1                                            // v_accvgpr read vgpr after write vgpr: 2 wait states
ds_bpermute_b32 v5, v0, v5, offset:28              // permute edge values
s_waitcnt 0                                        // wait for swizzle operation
v_accvgpr_write_b32 acc66, v5                      // 
v_accvgpr_read_b32 v5, acc67                       // glvw 1 mb 2 tt1 3 r 0
s_nop 1                                            // v_accvgpr read vgpr after write vgpr: 2 wait states
ds_bpermute_b32 v5, v0, v5, offset:28              // permute edge values
s_waitcnt 0                                        // wait for swizzle operation
v_accvgpr_write_b32 acc67, v5                      // 
v_accvgpr_read_b32 v5, acc68                       // glvw 1 mb 2 tt1 4 r 0
s_nop 1                                            // v_accvgpr read vgpr after write vgpr: 2 wait states
ds_bpermute_b32 v5, v0, v5, offset:28              // permute edge values
s_waitcnt 0                                        // wait for swizzle operation
v_accvgpr_write_b32 acc68, v5                      // 
v_accvgpr_read_b32 v5, acc69                       // glvw 1 mb 2 tt1 5 r 0
s_nop 1                                            // v_accvgpr read vgpr after write vgpr: 2 wait states
ds_bpermute_b32 v5, v0, v5, offset:28              // permute edge values
s_waitcnt 0                                        // wait for swizzle operation
v_accvgpr_write_b32 acc69, v5                      // 
v_accvgpr_read_b32 v5, acc70                       // glvw 1 mb 2 tt1 6 r 0
s_nop 1                                            // v_accvgpr read vgpr after write vgpr: 2 wait states
ds_bpermute_b32 v5, v0, v5, offset:28              // permute edge values
s_waitcnt 0                                        // wait for swizzle operation
v_accvgpr_write_b32 acc70, v5                      // 
v_accvgpr_read_b32 v5, acc71                       // glvw 1 mb 2 tt1 7 r 0
s_nop 1                                            // v_accvgpr read vgpr after write vgpr: 2 wait states
ds_bpermute_b32 v5, v0, v5, offset:28              // permute edge values
s_waitcnt 0                                        // wait for swizzle operation
v_accvgpr_write_b32 acc71, v5                      // 
v_accvgpr_read_b32 v5, acc72                       // glvw 1 mb 2 tt1 8 r 0
s_nop 1                                            // v_accvgpr read vgpr after write vgpr: 2 wait states
ds_bpermute_b32 v5, v0, v5, offset:28              // permute edge values
s_waitcnt 0                                        // wait for swizzle operation
v_accvgpr_write_b32 acc72, v5                      // 
v_accvgpr_read_b32 v5, acc73                       // glvw 1 mb 2 tt1 9 r 0
s_nop 1                                            // v_accvgpr read vgpr after write vgpr: 2 wait states
ds_bpermute_b32 v5, v0, v5, offset:28              // permute edge values
s_waitcnt 0                                        // wait for swizzle operation
v_accvgpr_write_b32 acc73, v5                      // 
v_accvgpr_read_b32 v5, acc74                       // glvw 1 mb 2 tt1 10 r 0
s_nop 1                                            // v_accvgpr read vgpr after write vgpr: 2 wait states
ds_bpermute_b32 v5, v0, v5, offset:28              // permute edge values
s_waitcnt 0                                        // wait for swizzle operation
v_accvgpr_write_b32 acc74, v5                      // 
v_accvgpr_read_b32 v5, acc75                       // glvw 1 mb 2 tt1 11 r 0
s_nop 1                                            // v_accvgpr read vgpr after write vgpr: 2 wait states
ds_bpermute_b32 v5, v0, v5, offset:28              // permute edge values
s_waitcnt 0                                        // wait for swizzle operation
v_accvgpr_write_b32 acc75, v5                      // 
v_accvgpr_read_b32 v5, acc76                       // glvw 1 mb 2 tt1 12 r 0
s_nop 1                                            // v_accvgpr read vgpr after write vgpr: 2 wait states
ds_bpermute_b32 v5, v0, v5, offset:28              // permute edge values
s_waitcnt 0                                        // wait for swizzle operation
v_accvgpr_write_b32 acc76, v5                      // 
v_accvgpr_read_b32 v5, acc77                       // glvw 1 mb 2 tt1 13 r 0
s_nop 1                                            // v_accvgpr read vgpr after write vgpr: 2 wait states
ds_bpermute_b32 v5, v0, v5, offset:28              // permute edge values
s_waitcnt 0                                        // wait for swizzle operation
v_accvgpr_write_b32 acc77, v5                      // 
v_accvgpr_read_b32 v5, acc78                       // glvw 1 mb 2 tt1 14 r 0
s_nop 1                                            // v_accvgpr read vgpr after write vgpr: 2 wait states
ds_bpermute_b32 v5, v0, v5, offset:28              // permute edge values
s_waitcnt 0                                        // wait for swizzle operation
v_accvgpr_write_b32 acc78, v5                      // 
v_accvgpr_read_b32 v5, acc79                       // glvw 1 mb 2 tt1 15 r 0
s_nop 1                                            // v_accvgpr read vgpr after write vgpr: 2 wait states
ds_bpermute_b32 v5, v0, v5, offset:28              // permute edge values
s_waitcnt 0                                        // wait for swizzle operation
v_accvgpr_write_b32 acc79, v5                      // 
v_accvgpr_read_b32 v5, acc80                       // glvw 1 mb 2 tt1 16 r 0
s_nop 1                                            // v_accvgpr read vgpr after write vgpr: 2 wait states
ds_bpermute_b32 v5, v0, v5, offset:28              // permute edge values
s_waitcnt 0                                        // wait for swizzle operation
v_accvgpr_write_b32 acc80, v5                      // 
v_accvgpr_read_b32 v5, acc81                       // glvw 1 mb 2 tt1 17 r 0
s_nop 1                                            // v_accvgpr read vgpr after write vgpr: 2 wait states
ds_bpermute_b32 v5, v0, v5, offset:28              // permute edge values
s_waitcnt 0                                        // wait for swizzle operation
v_accvgpr_write_b32 acc81, v5                      // 
v_accvgpr_read_b32 v5, acc82                       // glvw 1 mb 2 tt1 18 r 0
s_nop 1                                            // v_accvgpr read vgpr after write vgpr: 2 wait states
ds_bpermute_b32 v5, v0, v5, offset:28              // permute edge values
s_waitcnt 0                                        // wait for swizzle operation
v_accvgpr_write_b32 acc82, v5                      // 
v_accvgpr_read_b32 v5, acc83                       // glvw 1 mb 2 tt1 19 r 0
s_nop 1                                            // v_accvgpr read vgpr after write vgpr: 2 wait states
ds_bpermute_b32 v5, v0, v5, offset:28              // permute edge values
s_waitcnt 0                                        // wait for swizzle operation
v_accvgpr_write_b32 acc83, v5                      // 
v_accvgpr_read_b32 v5, acc84                       // glvw 1 mb 2 tt1 20 r 0
s_nop 1                                            // v_accvgpr read vgpr after write vgpr: 2 wait states
ds_bpermute_b32 v5, v0, v5, offset:28              // permute edge values
s_waitcnt 0                                        // wait for swizzle operation
v_accvgpr_write_b32 acc84, v5                      // 
v_accvgpr_read_b32 v5, acc85                       // glvw 1 mb 2 tt1 21 r 0
s_nop 1                                            // v_accvgpr read vgpr after write vgpr: 2 wait states
ds_bpermute_b32 v5, v0, v5, offset:28              // permute edge values
s_waitcnt 0                                        // wait for swizzle operation
v_accvgpr_write_b32 acc85, v5                      // 
v_accvgpr_read_b32 v5, acc86                       // glvw 1 mb 2 tt1 22 r 0
s_nop 1                                            // v_accvgpr read vgpr after write vgpr: 2 wait states
ds_bpermute_b32 v5, v0, v5, offset:28              // permute edge values
s_waitcnt 0                                        // wait for swizzle operation
v_accvgpr_write_b32 acc86, v5                      // 
v_accvgpr_read_b32 v5, acc87                       // glvw 1 mb 2 tt1 23 r 0
s_nop 1                                            // v_accvgpr read vgpr after write vgpr: 2 wait states
ds_bpermute_b32 v5, v0, v5, offset:28              // permute edge values
s_waitcnt 0                                        // wait for swizzle operation
v_accvgpr_write_b32 acc87, v5                      // 
v_accvgpr_read_b32 v5, acc88                       // glvw 1 mb 2 tt1 24 r 0
s_nop 1                                            // v_accvgpr read vgpr after write vgpr: 2 wait states
ds_bpermute_b32 v5, v0, v5, offset:28              // permute edge values
s_waitcnt 0                                        // wait for swizzle operation
v_accvgpr_write_b32 acc88, v5                      // 
v_accvgpr_read_b32 v5, acc89                       // glvw 1 mb 2 tt1 25 r 0
s_nop 1                                            // v_accvgpr read vgpr after write vgpr: 2 wait states
ds_bpermute_b32 v5, v0, v5, offset:28              // permute edge values
s_waitcnt 0                                        // wait for swizzle operation
v_accvgpr_write_b32 acc89, v5                      // 
v_accvgpr_read_b32 v5, acc90                       // glvw 1 mb 2 tt1 26 r 0
s_nop 1                                            // v_accvgpr read vgpr after write vgpr: 2 wait states
ds_bpermute_b32 v5, v0, v5, offset:28              // permute edge values
s_waitcnt 0                                        // wait for swizzle operation
v_accvgpr_write_b32 acc90, v5                      // 
v_accvgpr_read_b32 v5, acc91                       // glvw 1 mb 2 tt1 27 r 0
s_nop 1                                            // v_accvgpr read vgpr after write vgpr: 2 wait states
ds_bpermute_b32 v5, v0, v5, offset:28              // permute edge values
s_waitcnt 0                                        // wait for swizzle operation
v_accvgpr_write_b32 acc91, v5                      // 
v_accvgpr_read_b32 v5, acc92                       // glvw 1 mb 2 tt1 28 r 0
s_nop 1                                            // v_accvgpr read vgpr after write vgpr: 2 wait states
ds_bpermute_b32 v5, v0, v5, offset:28              // permute edge values
s_waitcnt 0                                        // wait for swizzle operation
v_accvgpr_write_b32 acc92, v5                      // 
v_accvgpr_read_b32 v5, acc93                       // glvw 1 mb 2 tt1 29 r 0
s_nop 1                                            // v_accvgpr read vgpr after write vgpr: 2 wait states
ds_bpermute_b32 v5, v0, v5, offset:28              // permute edge values
s_waitcnt 0                                        // wait for swizzle operation
v_accvgpr_write_b32 acc93, v5                      // 
v_accvgpr_read_b32 v5, acc94                       // glvw 1 mb 2 tt1 30 r 0
s_nop 1                                            // v_accvgpr read vgpr after write vgpr: 2 wait states
ds_bpermute_b32 v5, v0, v5, offset:28              // permute edge values
s_waitcnt 0                                        // wait for swizzle operation
v_accvgpr_write_b32 acc94, v5                      // 
v_accvgpr_read_b32 v5, acc95                       // glvw 1 mb 2 tt1 31 r 0
s_nop 1                                            // v_accvgpr read vgpr after write vgpr: 2 wait states
ds_bpermute_b32 v5, v0, v5, offset:28              // permute edge values
s_waitcnt 0                                        // wait for swizzle operation
v_accvgpr_write_b32 acc95, v5                      // 
s_mov_b64 s[32:33], 0xFFFFFFFFFFFFFFFF             // to restore all threads active
s_or_saveexec_b64 vcc, s[32:33]                    // all threads active
s_branch label_0148                                // done shifting


/******************************************/
/* shift d1 r=1 mb=3 vw0                  */
/******************************************/
label_0037: // r1 mb3 vw0 
s_mov_b32 s32, 12                                  // 
_v_cmpx_eq_u32 s[32:33], v4, s32                   // is thread in edge glvw region
v_and_b32 v0, 63, v[vgprSerial]                    // permute register between threads
v_lshlrev_b32 v0, 2, v0                            // permute register between threads
v_accvgpr_read_b32 v5, acc96                       // glvw 1 mb 3 tt1 0 r 0
s_nop 1                                            // v_accvgpr read vgpr after write vgpr: 2 wait states
ds_bpermute_b32 v5, v0, v5, offset:28              // permute edge values
s_waitcnt 0                                        // wait for swizzle operation
v_accvgpr_write_b32 acc96, v5                      // 
v_accvgpr_read_b32 v5, acc97                       // glvw 1 mb 3 tt1 1 r 0
s_nop 1                                            // v_accvgpr read vgpr after write vgpr: 2 wait states
ds_bpermute_b32 v5, v0, v5, offset:28              // permute edge values
s_waitcnt 0                                        // wait for swizzle operation
v_accvgpr_write_b32 acc97, v5                      // 
v_accvgpr_read_b32 v5, acc98                       // glvw 1 mb 3 tt1 2 r 0
s_nop 1                                            // v_accvgpr read vgpr after write vgpr: 2 wait states
ds_bpermute_b32 v5, v0, v5, offset:28              // permute edge values
s_waitcnt 0                                        // wait for swizzle operation
v_accvgpr_write_b32 acc98, v5                      // 
v_accvgpr_read_b32 v5, acc99                       // glvw 1 mb 3 tt1 3 r 0
s_nop 1                                            // v_accvgpr read vgpr after write vgpr: 2 wait states
ds_bpermute_b32 v5, v0, v5, offset:28              // permute edge values
s_waitcnt 0                                        // wait for swizzle operation
v_accvgpr_write_b32 acc99, v5                      // 
v_accvgpr_read_b32 v5, acc100                      // glvw 1 mb 3 tt1 4 r 0
s_nop 1                                            // v_accvgpr read vgpr after write vgpr: 2 wait states
ds_bpermute_b32 v5, v0, v5, offset:28              // permute edge values
s_waitcnt 0                                        // wait for swizzle operation
v_accvgpr_write_b32 acc100, v5                     // 
v_accvgpr_read_b32 v5, acc101                      // glvw 1 mb 3 tt1 5 r 0
s_nop 1                                            // v_accvgpr read vgpr after write vgpr: 2 wait states
ds_bpermute_b32 v5, v0, v5, offset:28              // permute edge values
s_waitcnt 0                                        // wait for swizzle operation
v_accvgpr_write_b32 acc101, v5                     // 
v_accvgpr_read_b32 v5, acc102                      // glvw 1 mb 3 tt1 6 r 0
s_nop 1                                            // v_accvgpr read vgpr after write vgpr: 2 wait states
ds_bpermute_b32 v5, v0, v5, offset:28              // permute edge values
s_waitcnt 0                                        // wait for swizzle operation
v_accvgpr_write_b32 acc102, v5                     // 
v_accvgpr_read_b32 v5, acc103                      // glvw 1 mb 3 tt1 7 r 0
s_nop 1                                            // v_accvgpr read vgpr after write vgpr: 2 wait states
ds_bpermute_b32 v5, v0, v5, offset:28              // permute edge values
s_waitcnt 0                                        // wait for swizzle operation
v_accvgpr_write_b32 acc103, v5                     // 
v_accvgpr_read_b32 v5, acc104                      // glvw 1 mb 3 tt1 8 r 0
s_nop 1                                            // v_accvgpr read vgpr after write vgpr: 2 wait states
ds_bpermute_b32 v5, v0, v5, offset:28              // permute edge values
s_waitcnt 0                                        // wait for swizzle operation
v_accvgpr_write_b32 acc104, v5                     // 
v_accvgpr_read_b32 v5, acc105                      // glvw 1 mb 3 tt1 9 r 0
s_nop 1                                            // v_accvgpr read vgpr after write vgpr: 2 wait states
ds_bpermute_b32 v5, v0, v5, offset:28              // permute edge values
s_waitcnt 0                                        // wait for swizzle operation
v_accvgpr_write_b32 acc105, v5                     // 
v_accvgpr_read_b32 v5, acc106                      // glvw 1 mb 3 tt1 10 r 0
s_nop 1                                            // v_accvgpr read vgpr after write vgpr: 2 wait states
ds_bpermute_b32 v5, v0, v5, offset:28              // permute edge values
s_waitcnt 0                                        // wait for swizzle operation
v_accvgpr_write_b32 acc106, v5                     // 
v_accvgpr_read_b32 v5, acc107                      // glvw 1 mb 3 tt1 11 r 0
s_nop 1                                            // v_accvgpr read vgpr after write vgpr: 2 wait states
ds_bpermute_b32 v5, v0, v5, offset:28              // permute edge values
s_waitcnt 0                                        // wait for swizzle operation
v_accvgpr_write_b32 acc107, v5                     // 
v_accvgpr_read_b32 v5, acc108                      // glvw 1 mb 3 tt1 12 r 0
s_nop 1                                            // v_accvgpr read vgpr after write vgpr: 2 wait states
ds_bpermute_b32 v5, v0, v5, offset:28              // permute edge values
s_waitcnt 0                                        // wait for swizzle operation
v_accvgpr_write_b32 acc108, v5                     // 
v_accvgpr_read_b32 v5, acc109                      // glvw 1 mb 3 tt1 13 r 0
s_nop 1                                            // v_accvgpr read vgpr after write vgpr: 2 wait states
ds_bpermute_b32 v5, v0, v5, offset:28              // permute edge values
s_waitcnt 0                                        // wait for swizzle operation
v_accvgpr_write_b32 acc109, v5                     // 
v_accvgpr_read_b32 v5, acc110                      // glvw 1 mb 3 tt1 14 r 0
s_nop 1                                            // v_accvgpr read vgpr after write vgpr: 2 wait states
ds_bpermute_b32 v5, v0, v5, offset:28              // permute edge values
s_waitcnt 0                                        // wait for swizzle operation
v_accvgpr_write_b32 acc110, v5                     // 
v_accvgpr_read_b32 v5, acc111                      // glvw 1 mb 3 tt1 15 r 0
s_nop 1                                            // v_accvgpr read vgpr after write vgpr: 2 wait states
ds_bpermute_b32 v5, v0, v5, offset:28              // permute edge values
s_waitcnt 0                                        // wait for swizzle operation
v_accvgpr_write_b32 acc111, v5                     // 
v_accvgpr_read_b32 v5, acc112                      // glvw 1 mb 3 tt1 16 r 0
s_nop 1                                            // v_accvgpr read vgpr after write vgpr: 2 wait states
ds_bpermute_b32 v5, v0, v5, offset:28              // permute edge values
s_waitcnt 0                                        // wait for swizzle operation
v_accvgpr_write_b32 acc112, v5                     // 
v_accvgpr_read_b32 v5, acc113                      // glvw 1 mb 3 tt1 17 r 0
s_nop 1                                            // v_accvgpr read vgpr after write vgpr: 2 wait states
ds_bpermute_b32 v5, v0, v5, offset:28              // permute edge values
s_waitcnt 0                                        // wait for swizzle operation
v_accvgpr_write_b32 acc113, v5                     // 
v_accvgpr_read_b32 v5, acc114                      // glvw 1 mb 3 tt1 18 r 0
s_nop 1                                            // v_accvgpr read vgpr after write vgpr: 2 wait states
ds_bpermute_b32 v5, v0, v5, offset:28              // permute edge values
s_waitcnt 0                                        // wait for swizzle operation
v_accvgpr_write_b32 acc114, v5                     // 
v_accvgpr_read_b32 v5, acc115                      // glvw 1 mb 3 tt1 19 r 0
s_nop 1                                            // v_accvgpr read vgpr after write vgpr: 2 wait states
ds_bpermute_b32 v5, v0, v5, offset:28              // permute edge values
s_waitcnt 0                                        // wait for swizzle operation
v_accvgpr_write_b32 acc115, v5                     // 
v_accvgpr_read_b32 v5, acc116                      // glvw 1 mb 3 tt1 20 r 0
s_nop 1                                            // v_accvgpr read vgpr after write vgpr: 2 wait states
ds_bpermute_b32 v5, v0, v5, offset:28              // permute edge values
s_waitcnt 0                                        // wait for swizzle operation
v_accvgpr_write_b32 acc116, v5                     // 
v_accvgpr_read_b32 v5, acc117                      // glvw 1 mb 3 tt1 21 r 0
s_nop 1                                            // v_accvgpr read vgpr after write vgpr: 2 wait states
ds_bpermute_b32 v5, v0, v5, offset:28              // permute edge values
s_waitcnt 0                                        // wait for swizzle operation
v_accvgpr_write_b32 acc117, v5                     // 
v_accvgpr_read_b32 v5, acc118                      // glvw 1 mb 3 tt1 22 r 0
s_nop 1                                            // v_accvgpr read vgpr after write vgpr: 2 wait states
ds_bpermute_b32 v5, v0, v5, offset:28              // permute edge values
s_waitcnt 0                                        // wait for swizzle operation
v_accvgpr_write_b32 acc118, v5                     // 
v_accvgpr_read_b32 v5, acc119                      // glvw 1 mb 3 tt1 23 r 0
s_nop 1                                            // v_accvgpr read vgpr after write vgpr: 2 wait states
ds_bpermute_b32 v5, v0, v5, offset:28              // permute edge values
s_waitcnt 0                                        // wait for swizzle operation
v_accvgpr_write_b32 acc119, v5                     // 
v_accvgpr_read_b32 v5, acc120                      // glvw 1 mb 3 tt1 24 r 0
s_nop 1                                            // v_accvgpr read vgpr after write vgpr: 2 wait states
ds_bpermute_b32 v5, v0, v5, offset:28              // permute edge values
s_waitcnt 0                                        // wait for swizzle operation
v_accvgpr_write_b32 acc120, v5                     // 
v_accvgpr_read_b32 v5, acc121                      // glvw 1 mb 3 tt1 25 r 0
s_nop 1                                            // v_accvgpr read vgpr after write vgpr: 2 wait states
ds_bpermute_b32 v5, v0, v5, offset:28              // permute edge values
s_waitcnt 0                                        // wait for swizzle operation
v_accvgpr_write_b32 acc121, v5                     // 
v_accvgpr_read_b32 v5, acc122                      // glvw 1 mb 3 tt1 26 r 0
s_nop 1                                            // v_accvgpr read vgpr after write vgpr: 2 wait states
ds_bpermute_b32 v5, v0, v5, offset:28              // permute edge values
s_waitcnt 0                                        // wait for swizzle operation
v_accvgpr_write_b32 acc122, v5                     // 
v_accvgpr_read_b32 v5, acc123                      // glvw 1 mb 3 tt1 27 r 0
s_nop 1                                            // v_accvgpr read vgpr after write vgpr: 2 wait states
ds_bpermute_b32 v5, v0, v5, offset:28              // permute edge values
s_waitcnt 0                                        // wait for swizzle operation
v_accvgpr_write_b32 acc123, v5                     // 
v_accvgpr_read_b32 v5, acc124                      // glvw 1 mb 3 tt1 28 r 0
s_nop 1                                            // v_accvgpr read vgpr after write vgpr: 2 wait states
ds_bpermute_b32 v5, v0, v5, offset:28              // permute edge values
s_waitcnt 0                                        // wait for swizzle operation
v_accvgpr_write_b32 acc124, v5                     // 
v_accvgpr_read_b32 v5, acc125                      // glvw 1 mb 3 tt1 29 r 0
s_nop 1                                            // v_accvgpr read vgpr after write vgpr: 2 wait states
ds_bpermute_b32 v5, v0, v5, offset:28              // permute edge values
s_waitcnt 0                                        // wait for swizzle operation
v_accvgpr_write_b32 acc125, v5                     // 
v_accvgpr_read_b32 v5, acc126                      // glvw 1 mb 3 tt1 30 r 0
s_nop 1                                            // v_accvgpr read vgpr after write vgpr: 2 wait states
ds_bpermute_b32 v5, v0, v5, offset:28              // permute edge values
s_waitcnt 0                                        // wait for swizzle operation
v_accvgpr_write_b32 acc126, v5                     // 
v_accvgpr_read_b32 v5, acc127                      // glvw 1 mb 3 tt1 31 r 0
s_nop 1                                            // v_accvgpr read vgpr after write vgpr: 2 wait states
ds_bpermute_b32 v5, v0, v5, offset:28              // permute edge values
s_waitcnt 0                                        // wait for swizzle operation
v_accvgpr_write_b32 acc127, v5                     // 
s_mov_b64 s[32:33], 0xFFFFFFFFFFFFFFFF             // to restore all threads active
s_or_saveexec_b64 vcc, s[32:33]                    // all threads active
s_branch label_0148                                // done shifting


/******************************************/
/* shift d1 r=1 mb=4 vw0                  */
/******************************************/
label_0039: // r1 mb4 vw0 
s_mov_b32 s32, 16                                  // 
_v_cmpx_eq_u32 s[32:33], v4, s32                   // is thread in edge glvw region
v_and_b32 v0, 63, v[vgprSerial]                    // permute register between threads
v_lshlrev_b32 v0, 2, v0                            // permute register between threads
v_accvgpr_read_b32 v5, acc128                      // glvw 1 mb 4 tt1 0 r 0
s_nop 1                                            // v_accvgpr read vgpr after write vgpr: 2 wait states
ds_bpermute_b32 v5, v0, v5, offset:28              // permute edge values
s_waitcnt 0                                        // wait for swizzle operation
v_accvgpr_write_b32 acc128, v5                     // 
v_accvgpr_read_b32 v5, acc129                      // glvw 1 mb 4 tt1 1 r 0
s_nop 1                                            // v_accvgpr read vgpr after write vgpr: 2 wait states
ds_bpermute_b32 v5, v0, v5, offset:28              // permute edge values
s_waitcnt 0                                        // wait for swizzle operation
v_accvgpr_write_b32 acc129, v5                     // 
v_accvgpr_read_b32 v5, acc130                      // glvw 1 mb 4 tt1 2 r 0
s_nop 1                                            // v_accvgpr read vgpr after write vgpr: 2 wait states
ds_bpermute_b32 v5, v0, v5, offset:28              // permute edge values
s_waitcnt 0                                        // wait for swizzle operation
v_accvgpr_write_b32 acc130, v5                     // 
v_accvgpr_read_b32 v5, acc131                      // glvw 1 mb 4 tt1 3 r 0
s_nop 1                                            // v_accvgpr read vgpr after write vgpr: 2 wait states
ds_bpermute_b32 v5, v0, v5, offset:28              // permute edge values
s_waitcnt 0                                        // wait for swizzle operation
v_accvgpr_write_b32 acc131, v5                     // 
v_accvgpr_read_b32 v5, acc132                      // glvw 1 mb 4 tt1 4 r 0
s_nop 1                                            // v_accvgpr read vgpr after write vgpr: 2 wait states
ds_bpermute_b32 v5, v0, v5, offset:28              // permute edge values
s_waitcnt 0                                        // wait for swizzle operation
v_accvgpr_write_b32 acc132, v5                     // 
v_accvgpr_read_b32 v5, acc133                      // glvw 1 mb 4 tt1 5 r 0
s_nop 1                                            // v_accvgpr read vgpr after write vgpr: 2 wait states
ds_bpermute_b32 v5, v0, v5, offset:28              // permute edge values
s_waitcnt 0                                        // wait for swizzle operation
v_accvgpr_write_b32 acc133, v5                     // 
v_accvgpr_read_b32 v5, acc134                      // glvw 1 mb 4 tt1 6 r 0
s_nop 1                                            // v_accvgpr read vgpr after write vgpr: 2 wait states
ds_bpermute_b32 v5, v0, v5, offset:28              // permute edge values
s_waitcnt 0                                        // wait for swizzle operation
v_accvgpr_write_b32 acc134, v5                     // 
v_accvgpr_read_b32 v5, acc135                      // glvw 1 mb 4 tt1 7 r 0
s_nop 1                                            // v_accvgpr read vgpr after write vgpr: 2 wait states
ds_bpermute_b32 v5, v0, v5, offset:28              // permute edge values
s_waitcnt 0                                        // wait for swizzle operation
v_accvgpr_write_b32 acc135, v5                     // 
v_accvgpr_read_b32 v5, acc136                      // glvw 1 mb 4 tt1 8 r 0
s_nop 1                                            // v_accvgpr read vgpr after write vgpr: 2 wait states
ds_bpermute_b32 v5, v0, v5, offset:28              // permute edge values
s_waitcnt 0                                        // wait for swizzle operation
v_accvgpr_write_b32 acc136, v5                     // 
v_accvgpr_read_b32 v5, acc137                      // glvw 1 mb 4 tt1 9 r 0
s_nop 1                                            // v_accvgpr read vgpr after write vgpr: 2 wait states
ds_bpermute_b32 v5, v0, v5, offset:28              // permute edge values
s_waitcnt 0                                        // wait for swizzle operation
v_accvgpr_write_b32 acc137, v5                     // 
v_accvgpr_read_b32 v5, acc138                      // glvw 1 mb 4 tt1 10 r 0
s_nop 1                                            // v_accvgpr read vgpr after write vgpr: 2 wait states
ds_bpermute_b32 v5, v0, v5, offset:28              // permute edge values
s_waitcnt 0                                        // wait for swizzle operation
v_accvgpr_write_b32 acc138, v5                     // 
v_accvgpr_read_b32 v5, acc139                      // glvw 1 mb 4 tt1 11 r 0
s_nop 1                                            // v_accvgpr read vgpr after write vgpr: 2 wait states
ds_bpermute_b32 v5, v0, v5, offset:28              // permute edge values
s_waitcnt 0                                        // wait for swizzle operation
v_accvgpr_write_b32 acc139, v5                     // 
v_accvgpr_read_b32 v5, acc140                      // glvw 1 mb 4 tt1 12 r 0
s_nop 1                                            // v_accvgpr read vgpr after write vgpr: 2 wait states
ds_bpermute_b32 v5, v0, v5, offset:28              // permute edge values
s_waitcnt 0                                        // wait for swizzle operation
v_accvgpr_write_b32 acc140, v5                     // 
v_accvgpr_read_b32 v5, acc141                      // glvw 1 mb 4 tt1 13 r 0
s_nop 1                                            // v_accvgpr read vgpr after write vgpr: 2 wait states
ds_bpermute_b32 v5, v0, v5, offset:28              // permute edge values
s_waitcnt 0                                        // wait for swizzle operation
v_accvgpr_write_b32 acc141, v5                     // 
v_accvgpr_read_b32 v5, acc142                      // glvw 1 mb 4 tt1 14 r 0
s_nop 1                                            // v_accvgpr read vgpr after write vgpr: 2 wait states
ds_bpermute_b32 v5, v0, v5, offset:28              // permute edge values
s_waitcnt 0                                        // wait for swizzle operation
v_accvgpr_write_b32 acc142, v5                     // 
v_accvgpr_read_b32 v5, acc143                      // glvw 1 mb 4 tt1 15 r 0
s_nop 1                                            // v_accvgpr read vgpr after write vgpr: 2 wait states
ds_bpermute_b32 v5, v0, v5, offset:28              // permute edge values
s_waitcnt 0                                        // wait for swizzle operation
v_accvgpr_write_b32 acc143, v5                     // 
v_accvgpr_read_b32 v5, acc144                      // glvw 1 mb 4 tt1 16 r 0
s_nop 1                                            // v_accvgpr read vgpr after write vgpr: 2 wait states
ds_bpermute_b32 v5, v0, v5, offset:28              // permute edge values
s_waitcnt 0                                        // wait for swizzle operation
v_accvgpr_write_b32 acc144, v5                     // 
v_accvgpr_read_b32 v5, acc145                      // glvw 1 mb 4 tt1 17 r 0
s_nop 1                                            // v_accvgpr read vgpr after write vgpr: 2 wait states
ds_bpermute_b32 v5, v0, v5, offset:28              // permute edge values
s_waitcnt 0                                        // wait for swizzle operation
v_accvgpr_write_b32 acc145, v5                     // 
v_accvgpr_read_b32 v5, acc146                      // glvw 1 mb 4 tt1 18 r 0
s_nop 1                                            // v_accvgpr read vgpr after write vgpr: 2 wait states
ds_bpermute_b32 v5, v0, v5, offset:28              // permute edge values
s_waitcnt 0                                        // wait for swizzle operation
v_accvgpr_write_b32 acc146, v5                     // 
v_accvgpr_read_b32 v5, acc147                      // glvw 1 mb 4 tt1 19 r 0
s_nop 1                                            // v_accvgpr read vgpr after write vgpr: 2 wait states
ds_bpermute_b32 v5, v0, v5, offset:28              // permute edge values
s_waitcnt 0                                        // wait for swizzle operation
v_accvgpr_write_b32 acc147, v5                     // 
v_accvgpr_read_b32 v5, acc148                      // glvw 1 mb 4 tt1 20 r 0
s_nop 1                                            // v_accvgpr read vgpr after write vgpr: 2 wait states
ds_bpermute_b32 v5, v0, v5, offset:28              // permute edge values
s_waitcnt 0                                        // wait for swizzle operation
v_accvgpr_write_b32 acc148, v5                     // 
v_accvgpr_read_b32 v5, acc149                      // glvw 1 mb 4 tt1 21 r 0
s_nop 1                                            // v_accvgpr read vgpr after write vgpr: 2 wait states
ds_bpermute_b32 v5, v0, v5, offset:28              // permute edge values
s_waitcnt 0                                        // wait for swizzle operation
v_accvgpr_write_b32 acc149, v5                     // 
v_accvgpr_read_b32 v5, acc150                      // glvw 1 mb 4 tt1 22 r 0
s_nop 1                                            // v_accvgpr read vgpr after write vgpr: 2 wait states
ds_bpermute_b32 v5, v0, v5, offset:28              // permute edge values
s_waitcnt 0                                        // wait for swizzle operation
v_accvgpr_write_b32 acc150, v5                     // 
v_accvgpr_read_b32 v5, acc151                      // glvw 1 mb 4 tt1 23 r 0
s_nop 1                                            // v_accvgpr read vgpr after write vgpr: 2 wait states
ds_bpermute_b32 v5, v0, v5, offset:28              // permute edge values
s_waitcnt 0                                        // wait for swizzle operation
v_accvgpr_write_b32 acc151, v5                     // 
v_accvgpr_read_b32 v5, acc152                      // glvw 1 mb 4 tt1 24 r 0
s_nop 1                                            // v_accvgpr read vgpr after write vgpr: 2 wait states
ds_bpermute_b32 v5, v0, v5, offset:28              // permute edge values
s_waitcnt 0                                        // wait for swizzle operation
v_accvgpr_write_b32 acc152, v5                     // 
v_accvgpr_read_b32 v5, acc153                      // glvw 1 mb 4 tt1 25 r 0
s_nop 1                                            // v_accvgpr read vgpr after write vgpr: 2 wait states
ds_bpermute_b32 v5, v0, v5, offset:28              // permute edge values
s_waitcnt 0                                        // wait for swizzle operation
v_accvgpr_write_b32 acc153, v5                     // 
v_accvgpr_read_b32 v5, acc154                      // glvw 1 mb 4 tt1 26 r 0
s_nop 1                                            // v_accvgpr read vgpr after write vgpr: 2 wait states
ds_bpermute_b32 v5, v0, v5, offset:28              // permute edge values
s_waitcnt 0                                        // wait for swizzle operation
v_accvgpr_write_b32 acc154, v5                     // 
v_accvgpr_read_b32 v5, acc155                      // glvw 1 mb 4 tt1 27 r 0
s_nop 1                                            // v_accvgpr read vgpr after write vgpr: 2 wait states
ds_bpermute_b32 v5, v0, v5, offset:28              // permute edge values
s_waitcnt 0                                        // wait for swizzle operation
v_accvgpr_write_b32 acc155, v5                     // 
v_accvgpr_read_b32 v5, acc156                      // glvw 1 mb 4 tt1 28 r 0
s_nop 1                                            // v_accvgpr read vgpr after write vgpr: 2 wait states
ds_bpermute_b32 v5, v0, v5, offset:28              // permute edge values
s_waitcnt 0                                        // wait for swizzle operation
v_accvgpr_write_b32 acc156, v5                     // 
v_accvgpr_read_b32 v5, acc157                      // glvw 1 mb 4 tt1 29 r 0
s_nop 1                                            // v_accvgpr read vgpr after write vgpr: 2 wait states
ds_bpermute_b32 v5, v0, v5, offset:28              // permute edge values
s_waitcnt 0                                        // wait for swizzle operation
v_accvgpr_write_b32 acc157, v5                     // 
v_accvgpr_read_b32 v5, acc158                      // glvw 1 mb 4 tt1 30 r 0
s_nop 1                                            // v_accvgpr read vgpr after write vgpr: 2 wait states
ds_bpermute_b32 v5, v0, v5, offset:28              // permute edge values
s_waitcnt 0                                        // wait for swizzle operation
v_accvgpr_write_b32 acc158, v5                     // 
v_accvgpr_read_b32 v5, acc159                      // glvw 1 mb 4 tt1 31 r 0
s_nop 1                                            // v_accvgpr read vgpr after write vgpr: 2 wait states
ds_bpermute_b32 v5, v0, v5, offset:28              // permute edge values
s_waitcnt 0                                        // wait for swizzle operation
v_accvgpr_write_b32 acc159, v5                     // 
s_mov_b64 s[32:33], 0xFFFFFFFFFFFFFFFF             // to restore all threads active
s_or_saveexec_b64 vcc, s[32:33]                    // all threads active
s_branch label_0148                                // done shifting


/******************************************/
/* shift d1 r=1 mb=5 vw0                  */
/******************************************/
label_0041: // r1 mb5 vw0 
s_mov_b32 s32, 20                                  // 
_v_cmpx_eq_u32 s[32:33], v4, s32                   // is thread in edge glvw region
v_and_b32 v0, 63, v[vgprSerial]                    // permute register between threads
v_lshlrev_b32 v0, 2, v0                            // permute register between threads
v_accvgpr_read_b32 v5, acc160                      // glvw 1 mb 5 tt1 0 r 0
s_nop 1                                            // v_accvgpr read vgpr after write vgpr: 2 wait states
ds_bpermute_b32 v5, v0, v5, offset:28              // permute edge values
s_waitcnt 0                                        // wait for swizzle operation
v_accvgpr_write_b32 acc160, v5                     // 
v_accvgpr_read_b32 v5, acc161                      // glvw 1 mb 5 tt1 1 r 0
s_nop 1                                            // v_accvgpr read vgpr after write vgpr: 2 wait states
ds_bpermute_b32 v5, v0, v5, offset:28              // permute edge values
s_waitcnt 0                                        // wait for swizzle operation
v_accvgpr_write_b32 acc161, v5                     // 
v_accvgpr_read_b32 v5, acc162                      // glvw 1 mb 5 tt1 2 r 0
s_nop 1                                            // v_accvgpr read vgpr after write vgpr: 2 wait states
ds_bpermute_b32 v5, v0, v5, offset:28              // permute edge values
s_waitcnt 0                                        // wait for swizzle operation
v_accvgpr_write_b32 acc162, v5                     // 
v_accvgpr_read_b32 v5, acc163                      // glvw 1 mb 5 tt1 3 r 0
s_nop 1                                            // v_accvgpr read vgpr after write vgpr: 2 wait states
ds_bpermute_b32 v5, v0, v5, offset:28              // permute edge values
s_waitcnt 0                                        // wait for swizzle operation
v_accvgpr_write_b32 acc163, v5                     // 
v_accvgpr_read_b32 v5, acc164                      // glvw 1 mb 5 tt1 4 r 0
s_nop 1                                            // v_accvgpr read vgpr after write vgpr: 2 wait states
ds_bpermute_b32 v5, v0, v5, offset:28              // permute edge values
s_waitcnt 0                                        // wait for swizzle operation
v_accvgpr_write_b32 acc164, v5                     // 
v_accvgpr_read_b32 v5, acc165                      // glvw 1 mb 5 tt1 5 r 0
s_nop 1                                            // v_accvgpr read vgpr after write vgpr: 2 wait states
ds_bpermute_b32 v5, v0, v5, offset:28              // permute edge values
s_waitcnt 0                                        // wait for swizzle operation
v_accvgpr_write_b32 acc165, v5                     // 
v_accvgpr_read_b32 v5, acc166                      // glvw 1 mb 5 tt1 6 r 0
s_nop 1                                            // v_accvgpr read vgpr after write vgpr: 2 wait states
ds_bpermute_b32 v5, v0, v5, offset:28              // permute edge values
s_waitcnt 0                                        // wait for swizzle operation
v_accvgpr_write_b32 acc166, v5                     // 
v_accvgpr_read_b32 v5, acc167                      // glvw 1 mb 5 tt1 7 r 0
s_nop 1                                            // v_accvgpr read vgpr after write vgpr: 2 wait states
ds_bpermute_b32 v5, v0, v5, offset:28              // permute edge values
s_waitcnt 0                                        // wait for swizzle operation
v_accvgpr_write_b32 acc167, v5                     // 
v_accvgpr_read_b32 v5, acc168                      // glvw 1 mb 5 tt1 8 r 0
s_nop 1                                            // v_accvgpr read vgpr after write vgpr: 2 wait states
ds_bpermute_b32 v5, v0, v5, offset:28              // permute edge values
s_waitcnt 0                                        // wait for swizzle operation
v_accvgpr_write_b32 acc168, v5                     // 
v_accvgpr_read_b32 v5, acc169                      // glvw 1 mb 5 tt1 9 r 0
s_nop 1                                            // v_accvgpr read vgpr after write vgpr: 2 wait states
ds_bpermute_b32 v5, v0, v5, offset:28              // permute edge values
s_waitcnt 0                                        // wait for swizzle operation
v_accvgpr_write_b32 acc169, v5                     // 
v_accvgpr_read_b32 v5, acc170                      // glvw 1 mb 5 tt1 10 r 0
s_nop 1                                            // v_accvgpr read vgpr after write vgpr: 2 wait states
ds_bpermute_b32 v5, v0, v5, offset:28              // permute edge values
s_waitcnt 0                                        // wait for swizzle operation
v_accvgpr_write_b32 acc170, v5                     // 
v_accvgpr_read_b32 v5, acc171                      // glvw 1 mb 5 tt1 11 r 0
s_nop 1                                            // v_accvgpr read vgpr after write vgpr: 2 wait states
ds_bpermute_b32 v5, v0, v5, offset:28              // permute edge values
s_waitcnt 0                                        // wait for swizzle operation
v_accvgpr_write_b32 acc171, v5                     // 
v_accvgpr_read_b32 v5, acc172                      // glvw 1 mb 5 tt1 12 r 0
s_nop 1                                            // v_accvgpr read vgpr after write vgpr: 2 wait states
ds_bpermute_b32 v5, v0, v5, offset:28              // permute edge values
s_waitcnt 0                                        // wait for swizzle operation
v_accvgpr_write_b32 acc172, v5                     // 
v_accvgpr_read_b32 v5, acc173                      // glvw 1 mb 5 tt1 13 r 0
s_nop 1                                            // v_accvgpr read vgpr after write vgpr: 2 wait states
ds_bpermute_b32 v5, v0, v5, offset:28              // permute edge values
s_waitcnt 0                                        // wait for swizzle operation
v_accvgpr_write_b32 acc173, v5                     // 
v_accvgpr_read_b32 v5, acc174                      // glvw 1 mb 5 tt1 14 r 0
s_nop 1                                            // v_accvgpr read vgpr after write vgpr: 2 wait states
ds_bpermute_b32 v5, v0, v5, offset:28              // permute edge values
s_waitcnt 0                                        // wait for swizzle operation
v_accvgpr_write_b32 acc174, v5                     // 
v_accvgpr_read_b32 v5, acc175                      // glvw 1 mb 5 tt1 15 r 0
s_nop 1                                            // v_accvgpr read vgpr after write vgpr: 2 wait states
ds_bpermute_b32 v5, v0, v5, offset:28              // permute edge values
s_waitcnt 0                                        // wait for swizzle operation
v_accvgpr_write_b32 acc175, v5                     // 
v_accvgpr_read_b32 v5, acc176                      // glvw 1 mb 5 tt1 16 r 0
s_nop 1                                            // v_accvgpr read vgpr after write vgpr: 2 wait states
ds_bpermute_b32 v5, v0, v5, offset:28              // permute edge values
s_waitcnt 0                                        // wait for swizzle operation
v_accvgpr_write_b32 acc176, v5                     // 
v_accvgpr_read_b32 v5, acc177                      // glvw 1 mb 5 tt1 17 r 0
s_nop 1                                            // v_accvgpr read vgpr after write vgpr: 2 wait states
ds_bpermute_b32 v5, v0, v5, offset:28              // permute edge values
s_waitcnt 0                                        // wait for swizzle operation
v_accvgpr_write_b32 acc177, v5                     // 
v_accvgpr_read_b32 v5, acc178                      // glvw 1 mb 5 tt1 18 r 0
s_nop 1                                            // v_accvgpr read vgpr after write vgpr: 2 wait states
ds_bpermute_b32 v5, v0, v5, offset:28              // permute edge values
s_waitcnt 0                                        // wait for swizzle operation
v_accvgpr_write_b32 acc178, v5                     // 
v_accvgpr_read_b32 v5, acc179                      // glvw 1 mb 5 tt1 19 r 0
s_nop 1                                            // v_accvgpr read vgpr after write vgpr: 2 wait states
ds_bpermute_b32 v5, v0, v5, offset:28              // permute edge values
s_waitcnt 0                                        // wait for swizzle operation
v_accvgpr_write_b32 acc179, v5                     // 
v_accvgpr_read_b32 v5, acc180                      // glvw 1 mb 5 tt1 20 r 0
s_nop 1                                            // v_accvgpr read vgpr after write vgpr: 2 wait states
ds_bpermute_b32 v5, v0, v5, offset:28              // permute edge values
s_waitcnt 0                                        // wait for swizzle operation
v_accvgpr_write_b32 acc180, v5                     // 
v_accvgpr_read_b32 v5, acc181                      // glvw 1 mb 5 tt1 21 r 0
s_nop 1                                            // v_accvgpr read vgpr after write vgpr: 2 wait states
ds_bpermute_b32 v5, v0, v5, offset:28              // permute edge values
s_waitcnt 0                                        // wait for swizzle operation
v_accvgpr_write_b32 acc181, v5                     // 
v_accvgpr_read_b32 v5, acc182                      // glvw 1 mb 5 tt1 22 r 0
s_nop 1                                            // v_accvgpr read vgpr after write vgpr: 2 wait states
ds_bpermute_b32 v5, v0, v5, offset:28              // permute edge values
s_waitcnt 0                                        // wait for swizzle operation
v_accvgpr_write_b32 acc182, v5                     // 
v_accvgpr_read_b32 v5, acc183                      // glvw 1 mb 5 tt1 23 r 0
s_nop 1                                            // v_accvgpr read vgpr after write vgpr: 2 wait states
ds_bpermute_b32 v5, v0, v5, offset:28              // permute edge values
s_waitcnt 0                                        // wait for swizzle operation
v_accvgpr_write_b32 acc183, v5                     // 
v_accvgpr_read_b32 v5, acc184                      // glvw 1 mb 5 tt1 24 r 0
s_nop 1                                            // v_accvgpr read vgpr after write vgpr: 2 wait states
ds_bpermute_b32 v5, v0, v5, offset:28              // permute edge values
s_waitcnt 0                                        // wait for swizzle operation
v_accvgpr_write_b32 acc184, v5                     // 
v_accvgpr_read_b32 v5, acc185                      // glvw 1 mb 5 tt1 25 r 0
s_nop 1                                            // v_accvgpr read vgpr after write vgpr: 2 wait states
ds_bpermute_b32 v5, v0, v5, offset:28              // permute edge values
s_waitcnt 0                                        // wait for swizzle operation
v_accvgpr_write_b32 acc185, v5                     // 
v_accvgpr_read_b32 v5, acc186                      // glvw 1 mb 5 tt1 26 r 0
s_nop 1                                            // v_accvgpr read vgpr after write vgpr: 2 wait states
ds_bpermute_b32 v5, v0, v5, offset:28              // permute edge values
s_waitcnt 0                                        // wait for swizzle operation
v_accvgpr_write_b32 acc186, v5                     // 
v_accvgpr_read_b32 v5, acc187                      // glvw 1 mb 5 tt1 27 r 0
s_nop 1                                            // v_accvgpr read vgpr after write vgpr: 2 wait states
ds_bpermute_b32 v5, v0, v5, offset:28              // permute edge values
s_waitcnt 0                                        // wait for swizzle operation
v_accvgpr_write_b32 acc187, v5                     // 
v_accvgpr_read_b32 v5, acc188                      // glvw 1 mb 5 tt1 28 r 0
s_nop 1                                            // v_accvgpr read vgpr after write vgpr: 2 wait states
ds_bpermute_b32 v5, v0, v5, offset:28              // permute edge values
s_waitcnt 0                                        // wait for swizzle operation
v_accvgpr_write_b32 acc188, v5                     // 
v_accvgpr_read_b32 v5, acc189                      // glvw 1 mb 5 tt1 29 r 0
s_nop 1                                            // v_accvgpr read vgpr after write vgpr: 2 wait states
ds_bpermute_b32 v5, v0, v5, offset:28              // permute edge values
s_waitcnt 0                                        // wait for swizzle operation
v_accvgpr_write_b32 acc189, v5                     // 
v_accvgpr_read_b32 v5, acc190                      // glvw 1 mb 5 tt1 30 r 0
s_nop 1                                            // v_accvgpr read vgpr after write vgpr: 2 wait states
ds_bpermute_b32 v5, v0, v5, offset:28              // permute edge values
s_waitcnt 0                                        // wait for swizzle operation
v_accvgpr_write_b32 acc190, v5                     // 
v_accvgpr_read_b32 v5, acc191                      // glvw 1 mb 5 tt1 31 r 0
s_nop 1                                            // v_accvgpr read vgpr after write vgpr: 2 wait states
ds_bpermute_b32 v5, v0, v5, offset:28              // permute edge values
s_waitcnt 0                                        // wait for swizzle operation
v_accvgpr_write_b32 acc191, v5                     // 
s_mov_b64 s[32:33], 0xFFFFFFFFFFFFFFFF             // to restore all threads active
s_or_saveexec_b64 vcc, s[32:33]                    // all threads active
s_branch label_0148                                // done shifting


/******************************************/
/* shift d1 r=1 mb=6 vw0                  */
/******************************************/
label_0043: // r1 mb6 vw0 
s_mov_b32 s32, 24                                  // 
_v_cmpx_eq_u32 s[32:33], v4, s32                   // is thread in edge glvw region
v_and_b32 v0, 63, v[vgprSerial]                    // permute register between threads
v_lshlrev_b32 v0, 2, v0                            // permute register between threads
v_accvgpr_read_b32 v5, acc192                      // glvw 1 mb 6 tt1 0 r 0
s_nop 1                                            // v_accvgpr read vgpr after write vgpr: 2 wait states
ds_bpermute_b32 v5, v0, v5, offset:28              // permute edge values
s_waitcnt 0                                        // wait for swizzle operation
v_accvgpr_write_b32 acc192, v5                     // 
v_accvgpr_read_b32 v5, acc193                      // glvw 1 mb 6 tt1 1 r 0
s_nop 1                                            // v_accvgpr read vgpr after write vgpr: 2 wait states
ds_bpermute_b32 v5, v0, v5, offset:28              // permute edge values
s_waitcnt 0                                        // wait for swizzle operation
v_accvgpr_write_b32 acc193, v5                     // 
v_accvgpr_read_b32 v5, acc194                      // glvw 1 mb 6 tt1 2 r 0
s_nop 1                                            // v_accvgpr read vgpr after write vgpr: 2 wait states
ds_bpermute_b32 v5, v0, v5, offset:28              // permute edge values
s_waitcnt 0                                        // wait for swizzle operation
v_accvgpr_write_b32 acc194, v5                     // 
v_accvgpr_read_b32 v5, acc195                      // glvw 1 mb 6 tt1 3 r 0
s_nop 1                                            // v_accvgpr read vgpr after write vgpr: 2 wait states
ds_bpermute_b32 v5, v0, v5, offset:28              // permute edge values
s_waitcnt 0                                        // wait for swizzle operation
v_accvgpr_write_b32 acc195, v5                     // 
v_accvgpr_read_b32 v5, acc196                      // glvw 1 mb 6 tt1 4 r 0
s_nop 1                                            // v_accvgpr read vgpr after write vgpr: 2 wait states
ds_bpermute_b32 v5, v0, v5, offset:28              // permute edge values
s_waitcnt 0                                        // wait for swizzle operation
v_accvgpr_write_b32 acc196, v5                     // 
v_accvgpr_read_b32 v5, acc197                      // glvw 1 mb 6 tt1 5 r 0
s_nop 1                                            // v_accvgpr read vgpr after write vgpr: 2 wait states
ds_bpermute_b32 v5, v0, v5, offset:28              // permute edge values
s_waitcnt 0                                        // wait for swizzle operation
v_accvgpr_write_b32 acc197, v5                     // 
v_accvgpr_read_b32 v5, acc198                      // glvw 1 mb 6 tt1 6 r 0
s_nop 1                                            // v_accvgpr read vgpr after write vgpr: 2 wait states
ds_bpermute_b32 v5, v0, v5, offset:28              // permute edge values
s_waitcnt 0                                        // wait for swizzle operation
v_accvgpr_write_b32 acc198, v5                     // 
v_accvgpr_read_b32 v5, acc199                      // glvw 1 mb 6 tt1 7 r 0
s_nop 1                                            // v_accvgpr read vgpr after write vgpr: 2 wait states
ds_bpermute_b32 v5, v0, v5, offset:28              // permute edge values
s_waitcnt 0                                        // wait for swizzle operation
v_accvgpr_write_b32 acc199, v5                     // 
v_accvgpr_read_b32 v5, acc200                      // glvw 1 mb 6 tt1 8 r 0
s_nop 1                                            // v_accvgpr read vgpr after write vgpr: 2 wait states
ds_bpermute_b32 v5, v0, v5, offset:28              // permute edge values
s_waitcnt 0                                        // wait for swizzle operation
v_accvgpr_write_b32 acc200, v5                     // 
v_accvgpr_read_b32 v5, acc201                      // glvw 1 mb 6 tt1 9 r 0
s_nop 1                                            // v_accvgpr read vgpr after write vgpr: 2 wait states
ds_bpermute_b32 v5, v0, v5, offset:28              // permute edge values
s_waitcnt 0                                        // wait for swizzle operation
v_accvgpr_write_b32 acc201, v5                     // 
v_accvgpr_read_b32 v5, acc202                      // glvw 1 mb 6 tt1 10 r 0
s_nop 1                                            // v_accvgpr read vgpr after write vgpr: 2 wait states
ds_bpermute_b32 v5, v0, v5, offset:28              // permute edge values
s_waitcnt 0                                        // wait for swizzle operation
v_accvgpr_write_b32 acc202, v5                     // 
v_accvgpr_read_b32 v5, acc203                      // glvw 1 mb 6 tt1 11 r 0
s_nop 1                                            // v_accvgpr read vgpr after write vgpr: 2 wait states
ds_bpermute_b32 v5, v0, v5, offset:28              // permute edge values
s_waitcnt 0                                        // wait for swizzle operation
v_accvgpr_write_b32 acc203, v5                     // 
v_accvgpr_read_b32 v5, acc204                      // glvw 1 mb 6 tt1 12 r 0
s_nop 1                                            // v_accvgpr read vgpr after write vgpr: 2 wait states
ds_bpermute_b32 v5, v0, v5, offset:28              // permute edge values
s_waitcnt 0                                        // wait for swizzle operation
v_accvgpr_write_b32 acc204, v5                     // 
v_accvgpr_read_b32 v5, acc205                      // glvw 1 mb 6 tt1 13 r 0
s_nop 1                                            // v_accvgpr read vgpr after write vgpr: 2 wait states
ds_bpermute_b32 v5, v0, v5, offset:28              // permute edge values
s_waitcnt 0                                        // wait for swizzle operation
v_accvgpr_write_b32 acc205, v5                     // 
v_accvgpr_read_b32 v5, acc206                      // glvw 1 mb 6 tt1 14 r 0
s_nop 1                                            // v_accvgpr read vgpr after write vgpr: 2 wait states
ds_bpermute_b32 v5, v0, v5, offset:28              // permute edge values
s_waitcnt 0                                        // wait for swizzle operation
v_accvgpr_write_b32 acc206, v5                     // 
v_accvgpr_read_b32 v5, acc207                      // glvw 1 mb 6 tt1 15 r 0
s_nop 1                                            // v_accvgpr read vgpr after write vgpr: 2 wait states
ds_bpermute_b32 v5, v0, v5, offset:28              // permute edge values
s_waitcnt 0                                        // wait for swizzle operation
v_accvgpr_write_b32 acc207, v5                     // 
v_accvgpr_read_b32 v5, acc208                      // glvw 1 mb 6 tt1 16 r 0
s_nop 1                                            // v_accvgpr read vgpr after write vgpr: 2 wait states
ds_bpermute_b32 v5, v0, v5, offset:28              // permute edge values
s_waitcnt 0                                        // wait for swizzle operation
v_accvgpr_write_b32 acc208, v5                     // 
v_accvgpr_read_b32 v5, acc209                      // glvw 1 mb 6 tt1 17 r 0
s_nop 1                                            // v_accvgpr read vgpr after write vgpr: 2 wait states
ds_bpermute_b32 v5, v0, v5, offset:28              // permute edge values
s_waitcnt 0                                        // wait for swizzle operation
v_accvgpr_write_b32 acc209, v5                     // 
v_accvgpr_read_b32 v5, acc210                      // glvw 1 mb 6 tt1 18 r 0
s_nop 1                                            // v_accvgpr read vgpr after write vgpr: 2 wait states
ds_bpermute_b32 v5, v0, v5, offset:28              // permute edge values
s_waitcnt 0                                        // wait for swizzle operation
v_accvgpr_write_b32 acc210, v5                     // 
v_accvgpr_read_b32 v5, acc211                      // glvw 1 mb 6 tt1 19 r 0
s_nop 1                                            // v_accvgpr read vgpr after write vgpr: 2 wait states
ds_bpermute_b32 v5, v0, v5, offset:28              // permute edge values
s_waitcnt 0                                        // wait for swizzle operation
v_accvgpr_write_b32 acc211, v5                     // 
v_accvgpr_read_b32 v5, acc212                      // glvw 1 mb 6 tt1 20 r 0
s_nop 1                                            // v_accvgpr read vgpr after write vgpr: 2 wait states
ds_bpermute_b32 v5, v0, v5, offset:28              // permute edge values
s_waitcnt 0                                        // wait for swizzle operation
v_accvgpr_write_b32 acc212, v5                     // 
v_accvgpr_read_b32 v5, acc213                      // glvw 1 mb 6 tt1 21 r 0
s_nop 1                                            // v_accvgpr read vgpr after write vgpr: 2 wait states
ds_bpermute_b32 v5, v0, v5, offset:28              // permute edge values
s_waitcnt 0                                        // wait for swizzle operation
v_accvgpr_write_b32 acc213, v5                     // 
v_accvgpr_read_b32 v5, acc214                      // glvw 1 mb 6 tt1 22 r 0
s_nop 1                                            // v_accvgpr read vgpr after write vgpr: 2 wait states
ds_bpermute_b32 v5, v0, v5, offset:28              // permute edge values
s_waitcnt 0                                        // wait for swizzle operation
v_accvgpr_write_b32 acc214, v5                     // 
v_accvgpr_read_b32 v5, acc215                      // glvw 1 mb 6 tt1 23 r 0
s_nop 1                                            // v_accvgpr read vgpr after write vgpr: 2 wait states
ds_bpermute_b32 v5, v0, v5, offset:28              // permute edge values
s_waitcnt 0                                        // wait for swizzle operation
v_accvgpr_write_b32 acc215, v5                     // 
v_accvgpr_read_b32 v5, acc216                      // glvw 1 mb 6 tt1 24 r 0
s_nop 1                                            // v_accvgpr read vgpr after write vgpr: 2 wait states
ds_bpermute_b32 v5, v0, v5, offset:28              // permute edge values
s_waitcnt 0                                        // wait for swizzle operation
v_accvgpr_write_b32 acc216, v5                     // 
v_accvgpr_read_b32 v5, acc217                      // glvw 1 mb 6 tt1 25 r 0
s_nop 1                                            // v_accvgpr read vgpr after write vgpr: 2 wait states
ds_bpermute_b32 v5, v0, v5, offset:28              // permute edge values
s_waitcnt 0                                        // wait for swizzle operation
v_accvgpr_write_b32 acc217, v5                     // 
v_accvgpr_read_b32 v5, acc218                      // glvw 1 mb 6 tt1 26 r 0
s_nop 1                                            // v_accvgpr read vgpr after write vgpr: 2 wait states
ds_bpermute_b32 v5, v0, v5, offset:28              // permute edge values
s_waitcnt 0                                        // wait for swizzle operation
v_accvgpr_write_b32 acc218, v5                     // 
v_accvgpr_read_b32 v5, acc219                      // glvw 1 mb 6 tt1 27 r 0
s_nop 1                                            // v_accvgpr read vgpr after write vgpr: 2 wait states
ds_bpermute_b32 v5, v0, v5, offset:28              // permute edge values
s_waitcnt 0                                        // wait for swizzle operation
v_accvgpr_write_b32 acc219, v5                     // 
v_accvgpr_read_b32 v5, acc220                      // glvw 1 mb 6 tt1 28 r 0
s_nop 1                                            // v_accvgpr read vgpr after write vgpr: 2 wait states
ds_bpermute_b32 v5, v0, v5, offset:28              // permute edge values
s_waitcnt 0                                        // wait for swizzle operation
v_accvgpr_write_b32 acc220, v5                     // 
v_accvgpr_read_b32 v5, acc221                      // glvw 1 mb 6 tt1 29 r 0
s_nop 1                                            // v_accvgpr read vgpr after write vgpr: 2 wait states
ds_bpermute_b32 v5, v0, v5, offset:28              // permute edge values
s_waitcnt 0                                        // wait for swizzle operation
v_accvgpr_write_b32 acc221, v5                     // 
v_accvgpr_read_b32 v5, acc222                      // glvw 1 mb 6 tt1 30 r 0
s_nop 1                                            // v_accvgpr read vgpr after write vgpr: 2 wait states
ds_bpermute_b32 v5, v0, v5, offset:28              // permute edge values
s_waitcnt 0                                        // wait for swizzle operation
v_accvgpr_write_b32 acc222, v5                     // 
v_accvgpr_read_b32 v5, acc223                      // glvw 1 mb 6 tt1 31 r 0
s_nop 1                                            // v_accvgpr read vgpr after write vgpr: 2 wait states
ds_bpermute_b32 v5, v0, v5, offset:28              // permute edge values
s_waitcnt 0                                        // wait for swizzle operation
v_accvgpr_write_b32 acc223, v5                     // 
s_mov_b64 s[32:33], 0xFFFFFFFFFFFFFFFF             // to restore all threads active
s_or_saveexec_b64 vcc, s[32:33]                    // all threads active
s_branch label_0148                                // done shifting


/******************************************/
/* shift d1 r=1 mb=7 vw0                  */
/******************************************/
label_0045: // r1 mb7 vw0 
s_mov_b32 s32, 28                                  // 
_v_cmpx_eq_u32 s[32:33], v4, s32                   // is thread in edge glvw region
v_and_b32 v0, 63, v[vgprSerial]                    // permute register between threads
v_lshlrev_b32 v0, 2, v0                            // permute register between threads
v_accvgpr_read_b32 v5, acc224                      // glvw 1 mb 7 tt1 0 r 0
s_nop 1                                            // v_accvgpr read vgpr after write vgpr: 2 wait states
ds_bpermute_b32 v5, v0, v5, offset:28              // permute edge values
s_waitcnt 0                                        // wait for swizzle operation
v_accvgpr_write_b32 acc224, v5                     // 
v_accvgpr_read_b32 v5, acc225                      // glvw 1 mb 7 tt1 1 r 0
s_nop 1                                            // v_accvgpr read vgpr after write vgpr: 2 wait states
ds_bpermute_b32 v5, v0, v5, offset:28              // permute edge values
s_waitcnt 0                                        // wait for swizzle operation
v_accvgpr_write_b32 acc225, v5                     // 
v_accvgpr_read_b32 v5, acc226                      // glvw 1 mb 7 tt1 2 r 0
s_nop 1                                            // v_accvgpr read vgpr after write vgpr: 2 wait states
ds_bpermute_b32 v5, v0, v5, offset:28              // permute edge values
s_waitcnt 0                                        // wait for swizzle operation
v_accvgpr_write_b32 acc226, v5                     // 
v_accvgpr_read_b32 v5, acc227                      // glvw 1 mb 7 tt1 3 r 0
s_nop 1                                            // v_accvgpr read vgpr after write vgpr: 2 wait states
ds_bpermute_b32 v5, v0, v5, offset:28              // permute edge values
s_waitcnt 0                                        // wait for swizzle operation
v_accvgpr_write_b32 acc227, v5                     // 
v_accvgpr_read_b32 v5, acc228                      // glvw 1 mb 7 tt1 4 r 0
s_nop 1                                            // v_accvgpr read vgpr after write vgpr: 2 wait states
ds_bpermute_b32 v5, v0, v5, offset:28              // permute edge values
s_waitcnt 0                                        // wait for swizzle operation
v_accvgpr_write_b32 acc228, v5                     // 
v_accvgpr_read_b32 v5, acc229                      // glvw 1 mb 7 tt1 5 r 0
s_nop 1                                            // v_accvgpr read vgpr after write vgpr: 2 wait states
ds_bpermute_b32 v5, v0, v5, offset:28              // permute edge values
s_waitcnt 0                                        // wait for swizzle operation
v_accvgpr_write_b32 acc229, v5                     // 
v_accvgpr_read_b32 v5, acc230                      // glvw 1 mb 7 tt1 6 r 0
s_nop 1                                            // v_accvgpr read vgpr after write vgpr: 2 wait states
ds_bpermute_b32 v5, v0, v5, offset:28              // permute edge values
s_waitcnt 0                                        // wait for swizzle operation
v_accvgpr_write_b32 acc230, v5                     // 
v_accvgpr_read_b32 v5, acc231                      // glvw 1 mb 7 tt1 7 r 0
s_nop 1                                            // v_accvgpr read vgpr after write vgpr: 2 wait states
ds_bpermute_b32 v5, v0, v5, offset:28              // permute edge values
s_waitcnt 0                                        // wait for swizzle operation
v_accvgpr_write_b32 acc231, v5                     // 
v_accvgpr_read_b32 v5, acc232                      // glvw 1 mb 7 tt1 8 r 0
s_nop 1                                            // v_accvgpr read vgpr after write vgpr: 2 wait states
ds_bpermute_b32 v5, v0, v5, offset:28              // permute edge values
s_waitcnt 0                                        // wait for swizzle operation
v_accvgpr_write_b32 acc232, v5                     // 
v_accvgpr_read_b32 v5, acc233                      // glvw 1 mb 7 tt1 9 r 0
s_nop 1                                            // v_accvgpr read vgpr after write vgpr: 2 wait states
ds_bpermute_b32 v5, v0, v5, offset:28              // permute edge values
s_waitcnt 0                                        // wait for swizzle operation
v_accvgpr_write_b32 acc233, v5                     // 
v_accvgpr_read_b32 v5, acc234                      // glvw 1 mb 7 tt1 10 r 0
s_nop 1                                            // v_accvgpr read vgpr after write vgpr: 2 wait states
ds_bpermute_b32 v5, v0, v5, offset:28              // permute edge values
s_waitcnt 0                                        // wait for swizzle operation
v_accvgpr_write_b32 acc234, v5                     // 
v_accvgpr_read_b32 v5, acc235                      // glvw 1 mb 7 tt1 11 r 0
s_nop 1                                            // v_accvgpr read vgpr after write vgpr: 2 wait states
ds_bpermute_b32 v5, v0, v5, offset:28              // permute edge values
s_waitcnt 0                                        // wait for swizzle operation
v_accvgpr_write_b32 acc235, v5                     // 
v_accvgpr_read_b32 v5, acc236                      // glvw 1 mb 7 tt1 12 r 0
s_nop 1                                            // v_accvgpr read vgpr after write vgpr: 2 wait states
ds_bpermute_b32 v5, v0, v5, offset:28              // permute edge values
s_waitcnt 0                                        // wait for swizzle operation
v_accvgpr_write_b32 acc236, v5                     // 
v_accvgpr_read_b32 v5, acc237                      // glvw 1 mb 7 tt1 13 r 0
s_nop 1                                            // v_accvgpr read vgpr after write vgpr: 2 wait states
ds_bpermute_b32 v5, v0, v5, offset:28              // permute edge values
s_waitcnt 0                                        // wait for swizzle operation
v_accvgpr_write_b32 acc237, v5                     // 
v_accvgpr_read_b32 v5, acc238                      // glvw 1 mb 7 tt1 14 r 0
s_nop 1                                            // v_accvgpr read vgpr after write vgpr: 2 wait states
ds_bpermute_b32 v5, v0, v5, offset:28              // permute edge values
s_waitcnt 0                                        // wait for swizzle operation
v_accvgpr_write_b32 acc238, v5                     // 
v_accvgpr_read_b32 v5, acc239                      // glvw 1 mb 7 tt1 15 r 0
s_nop 1                                            // v_accvgpr read vgpr after write vgpr: 2 wait states
ds_bpermute_b32 v5, v0, v5, offset:28              // permute edge values
s_waitcnt 0                                        // wait for swizzle operation
v_accvgpr_write_b32 acc239, v5                     // 
v_accvgpr_read_b32 v5, acc240                      // glvw 1 mb 7 tt1 16 r 0
s_nop 1                                            // v_accvgpr read vgpr after write vgpr: 2 wait states
ds_bpermute_b32 v5, v0, v5, offset:28              // permute edge values
s_waitcnt 0                                        // wait for swizzle operation
v_accvgpr_write_b32 acc240, v5                     // 
v_accvgpr_read_b32 v5, acc241                      // glvw 1 mb 7 tt1 17 r 0
s_nop 1                                            // v_accvgpr read vgpr after write vgpr: 2 wait states
ds_bpermute_b32 v5, v0, v5, offset:28              // permute edge values
s_waitcnt 0                                        // wait for swizzle operation
v_accvgpr_write_b32 acc241, v5                     // 
v_accvgpr_read_b32 v5, acc242                      // glvw 1 mb 7 tt1 18 r 0
s_nop 1                                            // v_accvgpr read vgpr after write vgpr: 2 wait states
ds_bpermute_b32 v5, v0, v5, offset:28              // permute edge values
s_waitcnt 0                                        // wait for swizzle operation
v_accvgpr_write_b32 acc242, v5                     // 
v_accvgpr_read_b32 v5, acc243                      // glvw 1 mb 7 tt1 19 r 0
s_nop 1                                            // v_accvgpr read vgpr after write vgpr: 2 wait states
ds_bpermute_b32 v5, v0, v5, offset:28              // permute edge values
s_waitcnt 0                                        // wait for swizzle operation
v_accvgpr_write_b32 acc243, v5                     // 
v_accvgpr_read_b32 v5, acc244                      // glvw 1 mb 7 tt1 20 r 0
s_nop 1                                            // v_accvgpr read vgpr after write vgpr: 2 wait states
ds_bpermute_b32 v5, v0, v5, offset:28              // permute edge values
s_waitcnt 0                                        // wait for swizzle operation
v_accvgpr_write_b32 acc244, v5                     // 
v_accvgpr_read_b32 v5, acc245                      // glvw 1 mb 7 tt1 21 r 0
s_nop 1                                            // v_accvgpr read vgpr after write vgpr: 2 wait states
ds_bpermute_b32 v5, v0, v5, offset:28              // permute edge values
s_waitcnt 0                                        // wait for swizzle operation
v_accvgpr_write_b32 acc245, v5                     // 
v_accvgpr_read_b32 v5, acc246                      // glvw 1 mb 7 tt1 22 r 0
s_nop 1                                            // v_accvgpr read vgpr after write vgpr: 2 wait states
ds_bpermute_b32 v5, v0, v5, offset:28              // permute edge values
s_waitcnt 0                                        // wait for swizzle operation
v_accvgpr_write_b32 acc246, v5                     // 
v_accvgpr_read_b32 v5, acc247                      // glvw 1 mb 7 tt1 23 r 0
s_nop 1                                            // v_accvgpr read vgpr after write vgpr: 2 wait states
ds_bpermute_b32 v5, v0, v5, offset:28              // permute edge values
s_waitcnt 0                                        // wait for swizzle operation
v_accvgpr_write_b32 acc247, v5                     // 
v_accvgpr_read_b32 v5, acc248                      // glvw 1 mb 7 tt1 24 r 0
s_nop 1                                            // v_accvgpr read vgpr after write vgpr: 2 wait states
ds_bpermute_b32 v5, v0, v5, offset:28              // permute edge values
s_waitcnt 0                                        // wait for swizzle operation
v_accvgpr_write_b32 acc248, v5                     // 
v_accvgpr_read_b32 v5, acc249                      // glvw 1 mb 7 tt1 25 r 0
s_nop 1                                            // v_accvgpr read vgpr after write vgpr: 2 wait states
ds_bpermute_b32 v5, v0, v5, offset:28              // permute edge values
s_waitcnt 0                                        // wait for swizzle operation
v_accvgpr_write_b32 acc249, v5                     // 
v_accvgpr_read_b32 v5, acc250                      // glvw 1 mb 7 tt1 26 r 0
s_nop 1                                            // v_accvgpr read vgpr after write vgpr: 2 wait states
ds_bpermute_b32 v5, v0, v5, offset:28              // permute edge values
s_waitcnt 0                                        // wait for swizzle operation
v_accvgpr_write_b32 acc250, v5                     // 
v_accvgpr_read_b32 v5, acc251                      // glvw 1 mb 7 tt1 27 r 0
s_nop 1                                            // v_accvgpr read vgpr after write vgpr: 2 wait states
ds_bpermute_b32 v5, v0, v5, offset:28              // permute edge values
s_waitcnt 0                                        // wait for swizzle operation
v_accvgpr_write_b32 acc251, v5                     // 
v_accvgpr_read_b32 v5, acc252                      // glvw 1 mb 7 tt1 28 r 0
s_nop 1                                            // v_accvgpr read vgpr after write vgpr: 2 wait states
ds_bpermute_b32 v5, v0, v5, offset:28              // permute edge values
s_waitcnt 0                                        // wait for swizzle operation
v_accvgpr_write_b32 acc252, v5                     // 
v_accvgpr_read_b32 v5, acc253                      // glvw 1 mb 7 tt1 29 r 0
s_nop 1                                            // v_accvgpr read vgpr after write vgpr: 2 wait states
ds_bpermute_b32 v5, v0, v5, offset:28              // permute edge values
s_waitcnt 0                                        // wait for swizzle operation
v_accvgpr_write_b32 acc253, v5                     // 
v_accvgpr_read_b32 v5, acc254                      // glvw 1 mb 7 tt1 30 r 0
s_nop 1                                            // v_accvgpr read vgpr after write vgpr: 2 wait states
ds_bpermute_b32 v5, v0, v5, offset:28              // permute edge values
s_waitcnt 0                                        // wait for swizzle operation
v_accvgpr_write_b32 acc254, v5                     // 
v_accvgpr_read_b32 v5, acc255                      // glvw 1 mb 7 tt1 31 r 0
s_nop 1                                            // v_accvgpr read vgpr after write vgpr: 2 wait states
ds_bpermute_b32 v5, v0, v5, offset:28              // permute edge values
s_waitcnt 0                                        // wait for swizzle operation
v_accvgpr_write_b32 acc255, v5                     // 
s_mov_b64 s[32:33], 0xFFFFFFFFFFFFFFFF             // to restore all threads active
s_or_saveexec_b64 vcc, s[32:33]                    // all threads active
s_branch label_0148                                // done shifting


/******************************************/
/* shift d1 r=2 mb=0 vw0                  */
/******************************************/
label_0048: // r2 mb0 vw0 
s_mov_b32 s32, 0                                   // 
_v_cmpx_eq_u32 s[32:33], v4, s32                   // is thread in edge glvw region
v_and_b32 v0, 63, v[vgprSerial]                    // permute register between threads
v_lshlrev_b32 v0, 2, v0                            // permute register between threads
v_accvgpr_read_b32 v5, acc0                        // glvw 2 mb 0 tt1 0 r 0
s_nop 1                                            // v_accvgpr read vgpr after write vgpr: 2 wait states
ds_bpermute_b32 v5, v0, v5, offset:24              // permute edge values
s_waitcnt 0                                        // wait for swizzle operation
v_accvgpr_write_b32 acc0, v5                       // 
v_accvgpr_read_b32 v5, acc1                        // glvw 2 mb 0 tt1 1 r 0
s_nop 1                                            // v_accvgpr read vgpr after write vgpr: 2 wait states
ds_bpermute_b32 v5, v0, v5, offset:24              // permute edge values
s_waitcnt 0                                        // wait for swizzle operation
v_accvgpr_write_b32 acc1, v5                       // 
v_accvgpr_read_b32 v5, acc2                        // glvw 2 mb 0 tt1 2 r 0
s_nop 1                                            // v_accvgpr read vgpr after write vgpr: 2 wait states
ds_bpermute_b32 v5, v0, v5, offset:24              // permute edge values
s_waitcnt 0                                        // wait for swizzle operation
v_accvgpr_write_b32 acc2, v5                       // 
v_accvgpr_read_b32 v5, acc3                        // glvw 2 mb 0 tt1 3 r 0
s_nop 1                                            // v_accvgpr read vgpr after write vgpr: 2 wait states
ds_bpermute_b32 v5, v0, v5, offset:24              // permute edge values
s_waitcnt 0                                        // wait for swizzle operation
v_accvgpr_write_b32 acc3, v5                       // 
v_accvgpr_read_b32 v5, acc4                        // glvw 2 mb 0 tt1 4 r 0
s_nop 1                                            // v_accvgpr read vgpr after write vgpr: 2 wait states
ds_bpermute_b32 v5, v0, v5, offset:24              // permute edge values
s_waitcnt 0                                        // wait for swizzle operation
v_accvgpr_write_b32 acc4, v5                       // 
v_accvgpr_read_b32 v5, acc5                        // glvw 2 mb 0 tt1 5 r 0
s_nop 1                                            // v_accvgpr read vgpr after write vgpr: 2 wait states
ds_bpermute_b32 v5, v0, v5, offset:24              // permute edge values
s_waitcnt 0                                        // wait for swizzle operation
v_accvgpr_write_b32 acc5, v5                       // 
v_accvgpr_read_b32 v5, acc6                        // glvw 2 mb 0 tt1 6 r 0
s_nop 1                                            // v_accvgpr read vgpr after write vgpr: 2 wait states
ds_bpermute_b32 v5, v0, v5, offset:24              // permute edge values
s_waitcnt 0                                        // wait for swizzle operation
v_accvgpr_write_b32 acc6, v5                       // 
v_accvgpr_read_b32 v5, acc7                        // glvw 2 mb 0 tt1 7 r 0
s_nop 1                                            // v_accvgpr read vgpr after write vgpr: 2 wait states
ds_bpermute_b32 v5, v0, v5, offset:24              // permute edge values
s_waitcnt 0                                        // wait for swizzle operation
v_accvgpr_write_b32 acc7, v5                       // 
v_accvgpr_read_b32 v5, acc8                        // glvw 2 mb 0 tt1 8 r 0
s_nop 1                                            // v_accvgpr read vgpr after write vgpr: 2 wait states
ds_bpermute_b32 v5, v0, v5, offset:24              // permute edge values
s_waitcnt 0                                        // wait for swizzle operation
v_accvgpr_write_b32 acc8, v5                       // 
v_accvgpr_read_b32 v5, acc9                        // glvw 2 mb 0 tt1 9 r 0
s_nop 1                                            // v_accvgpr read vgpr after write vgpr: 2 wait states
ds_bpermute_b32 v5, v0, v5, offset:24              // permute edge values
s_waitcnt 0                                        // wait for swizzle operation
v_accvgpr_write_b32 acc9, v5                       // 
v_accvgpr_read_b32 v5, acc10                       // glvw 2 mb 0 tt1 10 r 0
s_nop 1                                            // v_accvgpr read vgpr after write vgpr: 2 wait states
ds_bpermute_b32 v5, v0, v5, offset:24              // permute edge values
s_waitcnt 0                                        // wait for swizzle operation
v_accvgpr_write_b32 acc10, v5                      // 
v_accvgpr_read_b32 v5, acc11                       // glvw 2 mb 0 tt1 11 r 0
s_nop 1                                            // v_accvgpr read vgpr after write vgpr: 2 wait states
ds_bpermute_b32 v5, v0, v5, offset:24              // permute edge values
s_waitcnt 0                                        // wait for swizzle operation
v_accvgpr_write_b32 acc11, v5                      // 
v_accvgpr_read_b32 v5, acc12                       // glvw 2 mb 0 tt1 12 r 0
s_nop 1                                            // v_accvgpr read vgpr after write vgpr: 2 wait states
ds_bpermute_b32 v5, v0, v5, offset:24              // permute edge values
s_waitcnt 0                                        // wait for swizzle operation
v_accvgpr_write_b32 acc12, v5                      // 
v_accvgpr_read_b32 v5, acc13                       // glvw 2 mb 0 tt1 13 r 0
s_nop 1                                            // v_accvgpr read vgpr after write vgpr: 2 wait states
ds_bpermute_b32 v5, v0, v5, offset:24              // permute edge values
s_waitcnt 0                                        // wait for swizzle operation
v_accvgpr_write_b32 acc13, v5                      // 
v_accvgpr_read_b32 v5, acc14                       // glvw 2 mb 0 tt1 14 r 0
s_nop 1                                            // v_accvgpr read vgpr after write vgpr: 2 wait states
ds_bpermute_b32 v5, v0, v5, offset:24              // permute edge values
s_waitcnt 0                                        // wait for swizzle operation
v_accvgpr_write_b32 acc14, v5                      // 
v_accvgpr_read_b32 v5, acc15                       // glvw 2 mb 0 tt1 15 r 0
s_nop 1                                            // v_accvgpr read vgpr after write vgpr: 2 wait states
ds_bpermute_b32 v5, v0, v5, offset:24              // permute edge values
s_waitcnt 0                                        // wait for swizzle operation
v_accvgpr_write_b32 acc15, v5                      // 
v_accvgpr_read_b32 v5, acc16                       // glvw 2 mb 0 tt1 16 r 0
s_nop 1                                            // v_accvgpr read vgpr after write vgpr: 2 wait states
ds_bpermute_b32 v5, v0, v5, offset:24              // permute edge values
s_waitcnt 0                                        // wait for swizzle operation
v_accvgpr_write_b32 acc16, v5                      // 
v_accvgpr_read_b32 v5, acc17                       // glvw 2 mb 0 tt1 17 r 0
s_nop 1                                            // v_accvgpr read vgpr after write vgpr: 2 wait states
ds_bpermute_b32 v5, v0, v5, offset:24              // permute edge values
s_waitcnt 0                                        // wait for swizzle operation
v_accvgpr_write_b32 acc17, v5                      // 
v_accvgpr_read_b32 v5, acc18                       // glvw 2 mb 0 tt1 18 r 0
s_nop 1                                            // v_accvgpr read vgpr after write vgpr: 2 wait states
ds_bpermute_b32 v5, v0, v5, offset:24              // permute edge values
s_waitcnt 0                                        // wait for swizzle operation
v_accvgpr_write_b32 acc18, v5                      // 
v_accvgpr_read_b32 v5, acc19                       // glvw 2 mb 0 tt1 19 r 0
s_nop 1                                            // v_accvgpr read vgpr after write vgpr: 2 wait states
ds_bpermute_b32 v5, v0, v5, offset:24              // permute edge values
s_waitcnt 0                                        // wait for swizzle operation
v_accvgpr_write_b32 acc19, v5                      // 
v_accvgpr_read_b32 v5, acc20                       // glvw 2 mb 0 tt1 20 r 0
s_nop 1                                            // v_accvgpr read vgpr after write vgpr: 2 wait states
ds_bpermute_b32 v5, v0, v5, offset:24              // permute edge values
s_waitcnt 0                                        // wait for swizzle operation
v_accvgpr_write_b32 acc20, v5                      // 
v_accvgpr_read_b32 v5, acc21                       // glvw 2 mb 0 tt1 21 r 0
s_nop 1                                            // v_accvgpr read vgpr after write vgpr: 2 wait states
ds_bpermute_b32 v5, v0, v5, offset:24              // permute edge values
s_waitcnt 0                                        // wait for swizzle operation
v_accvgpr_write_b32 acc21, v5                      // 
v_accvgpr_read_b32 v5, acc22                       // glvw 2 mb 0 tt1 22 r 0
s_nop 1                                            // v_accvgpr read vgpr after write vgpr: 2 wait states
ds_bpermute_b32 v5, v0, v5, offset:24              // permute edge values
s_waitcnt 0                                        // wait for swizzle operation
v_accvgpr_write_b32 acc22, v5                      // 
v_accvgpr_read_b32 v5, acc23                       // glvw 2 mb 0 tt1 23 r 0
s_nop 1                                            // v_accvgpr read vgpr after write vgpr: 2 wait states
ds_bpermute_b32 v5, v0, v5, offset:24              // permute edge values
s_waitcnt 0                                        // wait for swizzle operation
v_accvgpr_write_b32 acc23, v5                      // 
v_accvgpr_read_b32 v5, acc24                       // glvw 2 mb 0 tt1 24 r 0
s_nop 1                                            // v_accvgpr read vgpr after write vgpr: 2 wait states
ds_bpermute_b32 v5, v0, v5, offset:24              // permute edge values
s_waitcnt 0                                        // wait for swizzle operation
v_accvgpr_write_b32 acc24, v5                      // 
v_accvgpr_read_b32 v5, acc25                       // glvw 2 mb 0 tt1 25 r 0
s_nop 1                                            // v_accvgpr read vgpr after write vgpr: 2 wait states
ds_bpermute_b32 v5, v0, v5, offset:24              // permute edge values
s_waitcnt 0                                        // wait for swizzle operation
v_accvgpr_write_b32 acc25, v5                      // 
v_accvgpr_read_b32 v5, acc26                       // glvw 2 mb 0 tt1 26 r 0
s_nop 1                                            // v_accvgpr read vgpr after write vgpr: 2 wait states
ds_bpermute_b32 v5, v0, v5, offset:24              // permute edge values
s_waitcnt 0                                        // wait for swizzle operation
v_accvgpr_write_b32 acc26, v5                      // 
v_accvgpr_read_b32 v5, acc27                       // glvw 2 mb 0 tt1 27 r 0
s_nop 1                                            // v_accvgpr read vgpr after write vgpr: 2 wait states
ds_bpermute_b32 v5, v0, v5, offset:24              // permute edge values
s_waitcnt 0                                        // wait for swizzle operation
v_accvgpr_write_b32 acc27, v5                      // 
v_accvgpr_read_b32 v5, acc28                       // glvw 2 mb 0 tt1 28 r 0
s_nop 1                                            // v_accvgpr read vgpr after write vgpr: 2 wait states
ds_bpermute_b32 v5, v0, v5, offset:24              // permute edge values
s_waitcnt 0                                        // wait for swizzle operation
v_accvgpr_write_b32 acc28, v5                      // 
v_accvgpr_read_b32 v5, acc29                       // glvw 2 mb 0 tt1 29 r 0
s_nop 1                                            // v_accvgpr read vgpr after write vgpr: 2 wait states
ds_bpermute_b32 v5, v0, v5, offset:24              // permute edge values
s_waitcnt 0                                        // wait for swizzle operation
v_accvgpr_write_b32 acc29, v5                      // 
v_accvgpr_read_b32 v5, acc30                       // glvw 2 mb 0 tt1 30 r 0
s_nop 1                                            // v_accvgpr read vgpr after write vgpr: 2 wait states
ds_bpermute_b32 v5, v0, v5, offset:24              // permute edge values
s_waitcnt 0                                        // wait for swizzle operation
v_accvgpr_write_b32 acc30, v5                      // 
v_accvgpr_read_b32 v5, acc31                       // glvw 2 mb 0 tt1 31 r 0
s_nop 1                                            // v_accvgpr read vgpr after write vgpr: 2 wait states
ds_bpermute_b32 v5, v0, v5, offset:24              // permute edge values
s_waitcnt 0                                        // wait for swizzle operation
v_accvgpr_write_b32 acc31, v5                      // 
s_mov_b64 s[32:33], 0xFFFFFFFFFFFFFFFF             // to restore all threads active
s_or_saveexec_b64 vcc, s[32:33]                    // all threads active
s_branch label_0148                                // done shifting


/******************************************/
/* shift d1 r=2 mb=1 vw0                  */
/******************************************/
label_0050: // r2 mb1 vw0 
s_mov_b32 s32, 4                                   // 
_v_cmpx_eq_u32 s[32:33], v4, s32                   // is thread in edge glvw region
v_and_b32 v0, 63, v[vgprSerial]                    // permute register between threads
v_lshlrev_b32 v0, 2, v0                            // permute register between threads
v_accvgpr_read_b32 v5, acc32                       // glvw 2 mb 1 tt1 0 r 0
s_nop 1                                            // v_accvgpr read vgpr after write vgpr: 2 wait states
ds_bpermute_b32 v5, v0, v5, offset:24              // permute edge values
s_waitcnt 0                                        // wait for swizzle operation
v_accvgpr_write_b32 acc32, v5                      // 
v_accvgpr_read_b32 v5, acc33                       // glvw 2 mb 1 tt1 1 r 0
s_nop 1                                            // v_accvgpr read vgpr after write vgpr: 2 wait states
ds_bpermute_b32 v5, v0, v5, offset:24              // permute edge values
s_waitcnt 0                                        // wait for swizzle operation
v_accvgpr_write_b32 acc33, v5                      // 
v_accvgpr_read_b32 v5, acc34                       // glvw 2 mb 1 tt1 2 r 0
s_nop 1                                            // v_accvgpr read vgpr after write vgpr: 2 wait states
ds_bpermute_b32 v5, v0, v5, offset:24              // permute edge values
s_waitcnt 0                                        // wait for swizzle operation
v_accvgpr_write_b32 acc34, v5                      // 
v_accvgpr_read_b32 v5, acc35                       // glvw 2 mb 1 tt1 3 r 0
s_nop 1                                            // v_accvgpr read vgpr after write vgpr: 2 wait states
ds_bpermute_b32 v5, v0, v5, offset:24              // permute edge values
s_waitcnt 0                                        // wait for swizzle operation
v_accvgpr_write_b32 acc35, v5                      // 
v_accvgpr_read_b32 v5, acc36                       // glvw 2 mb 1 tt1 4 r 0
s_nop 1                                            // v_accvgpr read vgpr after write vgpr: 2 wait states
ds_bpermute_b32 v5, v0, v5, offset:24              // permute edge values
s_waitcnt 0                                        // wait for swizzle operation
v_accvgpr_write_b32 acc36, v5                      // 
v_accvgpr_read_b32 v5, acc37                       // glvw 2 mb 1 tt1 5 r 0
s_nop 1                                            // v_accvgpr read vgpr after write vgpr: 2 wait states
ds_bpermute_b32 v5, v0, v5, offset:24              // permute edge values
s_waitcnt 0                                        // wait for swizzle operation
v_accvgpr_write_b32 acc37, v5                      // 
v_accvgpr_read_b32 v5, acc38                       // glvw 2 mb 1 tt1 6 r 0
s_nop 1                                            // v_accvgpr read vgpr after write vgpr: 2 wait states
ds_bpermute_b32 v5, v0, v5, offset:24              // permute edge values
s_waitcnt 0                                        // wait for swizzle operation
v_accvgpr_write_b32 acc38, v5                      // 
v_accvgpr_read_b32 v5, acc39                       // glvw 2 mb 1 tt1 7 r 0
s_nop 1                                            // v_accvgpr read vgpr after write vgpr: 2 wait states
ds_bpermute_b32 v5, v0, v5, offset:24              // permute edge values
s_waitcnt 0                                        // wait for swizzle operation
v_accvgpr_write_b32 acc39, v5                      // 
v_accvgpr_read_b32 v5, acc40                       // glvw 2 mb 1 tt1 8 r 0
s_nop 1                                            // v_accvgpr read vgpr after write vgpr: 2 wait states
ds_bpermute_b32 v5, v0, v5, offset:24              // permute edge values
s_waitcnt 0                                        // wait for swizzle operation
v_accvgpr_write_b32 acc40, v5                      // 
v_accvgpr_read_b32 v5, acc41                       // glvw 2 mb 1 tt1 9 r 0
s_nop 1                                            // v_accvgpr read vgpr after write vgpr: 2 wait states
ds_bpermute_b32 v5, v0, v5, offset:24              // permute edge values
s_waitcnt 0                                        // wait for swizzle operation
v_accvgpr_write_b32 acc41, v5                      // 
v_accvgpr_read_b32 v5, acc42                       // glvw 2 mb 1 tt1 10 r 0
s_nop 1                                            // v_accvgpr read vgpr after write vgpr: 2 wait states
ds_bpermute_b32 v5, v0, v5, offset:24              // permute edge values
s_waitcnt 0                                        // wait for swizzle operation
v_accvgpr_write_b32 acc42, v5                      // 
v_accvgpr_read_b32 v5, acc43                       // glvw 2 mb 1 tt1 11 r 0
s_nop 1                                            // v_accvgpr read vgpr after write vgpr: 2 wait states
ds_bpermute_b32 v5, v0, v5, offset:24              // permute edge values
s_waitcnt 0                                        // wait for swizzle operation
v_accvgpr_write_b32 acc43, v5                      // 
v_accvgpr_read_b32 v5, acc44                       // glvw 2 mb 1 tt1 12 r 0
s_nop 1                                            // v_accvgpr read vgpr after write vgpr: 2 wait states
ds_bpermute_b32 v5, v0, v5, offset:24              // permute edge values
s_waitcnt 0                                        // wait for swizzle operation
v_accvgpr_write_b32 acc44, v5                      // 
v_accvgpr_read_b32 v5, acc45                       // glvw 2 mb 1 tt1 13 r 0
s_nop 1                                            // v_accvgpr read vgpr after write vgpr: 2 wait states
ds_bpermute_b32 v5, v0, v5, offset:24              // permute edge values
s_waitcnt 0                                        // wait for swizzle operation
v_accvgpr_write_b32 acc45, v5                      // 
v_accvgpr_read_b32 v5, acc46                       // glvw 2 mb 1 tt1 14 r 0
s_nop 1                                            // v_accvgpr read vgpr after write vgpr: 2 wait states
ds_bpermute_b32 v5, v0, v5, offset:24              // permute edge values
s_waitcnt 0                                        // wait for swizzle operation
v_accvgpr_write_b32 acc46, v5                      // 
v_accvgpr_read_b32 v5, acc47                       // glvw 2 mb 1 tt1 15 r 0
s_nop 1                                            // v_accvgpr read vgpr after write vgpr: 2 wait states
ds_bpermute_b32 v5, v0, v5, offset:24              // permute edge values
s_waitcnt 0                                        // wait for swizzle operation
v_accvgpr_write_b32 acc47, v5                      // 
v_accvgpr_read_b32 v5, acc48                       // glvw 2 mb 1 tt1 16 r 0
s_nop 1                                            // v_accvgpr read vgpr after write vgpr: 2 wait states
ds_bpermute_b32 v5, v0, v5, offset:24              // permute edge values
s_waitcnt 0                                        // wait for swizzle operation
v_accvgpr_write_b32 acc48, v5                      // 
v_accvgpr_read_b32 v5, acc49                       // glvw 2 mb 1 tt1 17 r 0
s_nop 1                                            // v_accvgpr read vgpr after write vgpr: 2 wait states
ds_bpermute_b32 v5, v0, v5, offset:24              // permute edge values
s_waitcnt 0                                        // wait for swizzle operation
v_accvgpr_write_b32 acc49, v5                      // 
v_accvgpr_read_b32 v5, acc50                       // glvw 2 mb 1 tt1 18 r 0
s_nop 1                                            // v_accvgpr read vgpr after write vgpr: 2 wait states
ds_bpermute_b32 v5, v0, v5, offset:24              // permute edge values
s_waitcnt 0                                        // wait for swizzle operation
v_accvgpr_write_b32 acc50, v5                      // 
v_accvgpr_read_b32 v5, acc51                       // glvw 2 mb 1 tt1 19 r 0
s_nop 1                                            // v_accvgpr read vgpr after write vgpr: 2 wait states
ds_bpermute_b32 v5, v0, v5, offset:24              // permute edge values
s_waitcnt 0                                        // wait for swizzle operation
v_accvgpr_write_b32 acc51, v5                      // 
v_accvgpr_read_b32 v5, acc52                       // glvw 2 mb 1 tt1 20 r 0
s_nop 1                                            // v_accvgpr read vgpr after write vgpr: 2 wait states
ds_bpermute_b32 v5, v0, v5, offset:24              // permute edge values
s_waitcnt 0                                        // wait for swizzle operation
v_accvgpr_write_b32 acc52, v5                      // 
v_accvgpr_read_b32 v5, acc53                       // glvw 2 mb 1 tt1 21 r 0
s_nop 1                                            // v_accvgpr read vgpr after write vgpr: 2 wait states
ds_bpermute_b32 v5, v0, v5, offset:24              // permute edge values
s_waitcnt 0                                        // wait for swizzle operation
v_accvgpr_write_b32 acc53, v5                      // 
v_accvgpr_read_b32 v5, acc54                       // glvw 2 mb 1 tt1 22 r 0
s_nop 1                                            // v_accvgpr read vgpr after write vgpr: 2 wait states
ds_bpermute_b32 v5, v0, v5, offset:24              // permute edge values
s_waitcnt 0                                        // wait for swizzle operation
v_accvgpr_write_b32 acc54, v5                      // 
v_accvgpr_read_b32 v5, acc55                       // glvw 2 mb 1 tt1 23 r 0
s_nop 1                                            // v_accvgpr read vgpr after write vgpr: 2 wait states
ds_bpermute_b32 v5, v0, v5, offset:24              // permute edge values
s_waitcnt 0                                        // wait for swizzle operation
v_accvgpr_write_b32 acc55, v5                      // 
v_accvgpr_read_b32 v5, acc56                       // glvw 2 mb 1 tt1 24 r 0
s_nop 1                                            // v_accvgpr read vgpr after write vgpr: 2 wait states
ds_bpermute_b32 v5, v0, v5, offset:24              // permute edge values
s_waitcnt 0                                        // wait for swizzle operation
v_accvgpr_write_b32 acc56, v5                      // 
v_accvgpr_read_b32 v5, acc57                       // glvw 2 mb 1 tt1 25 r 0
s_nop 1                                            // v_accvgpr read vgpr after write vgpr: 2 wait states
ds_bpermute_b32 v5, v0, v5, offset:24              // permute edge values
s_waitcnt 0                                        // wait for swizzle operation
v_accvgpr_write_b32 acc57, v5                      // 
v_accvgpr_read_b32 v5, acc58                       // glvw 2 mb 1 tt1 26 r 0
s_nop 1                                            // v_accvgpr read vgpr after write vgpr: 2 wait states
ds_bpermute_b32 v5, v0, v5, offset:24              // permute edge values
s_waitcnt 0                                        // wait for swizzle operation
v_accvgpr_write_b32 acc58, v5                      // 
v_accvgpr_read_b32 v5, acc59                       // glvw 2 mb 1 tt1 27 r 0
s_nop 1                                            // v_accvgpr read vgpr after write vgpr: 2 wait states
ds_bpermute_b32 v5, v0, v5, offset:24              // permute edge values
s_waitcnt 0                                        // wait for swizzle operation
v_accvgpr_write_b32 acc59, v5                      // 
v_accvgpr_read_b32 v5, acc60                       // glvw 2 mb 1 tt1 28 r 0
s_nop 1                                            // v_accvgpr read vgpr after write vgpr: 2 wait states
ds_bpermute_b32 v5, v0, v5, offset:24              // permute edge values
s_waitcnt 0                                        // wait for swizzle operation
v_accvgpr_write_b32 acc60, v5                      // 
v_accvgpr_read_b32 v5, acc61                       // glvw 2 mb 1 tt1 29 r 0
s_nop 1                                            // v_accvgpr read vgpr after write vgpr: 2 wait states
ds_bpermute_b32 v5, v0, v5, offset:24              // permute edge values
s_waitcnt 0                                        // wait for swizzle operation
v_accvgpr_write_b32 acc61, v5                      // 
v_accvgpr_read_b32 v5, acc62                       // glvw 2 mb 1 tt1 30 r 0
s_nop 1                                            // v_accvgpr read vgpr after write vgpr: 2 wait states
ds_bpermute_b32 v5, v0, v5, offset:24              // permute edge values
s_waitcnt 0                                        // wait for swizzle operation
v_accvgpr_write_b32 acc62, v5                      // 
v_accvgpr_read_b32 v5, acc63                       // glvw 2 mb 1 tt1 31 r 0
s_nop 1                                            // v_accvgpr read vgpr after write vgpr: 2 wait states
ds_bpermute_b32 v5, v0, v5, offset:24              // permute edge values
s_waitcnt 0                                        // wait for swizzle operation
v_accvgpr_write_b32 acc63, v5                      // 
s_mov_b64 s[32:33], 0xFFFFFFFFFFFFFFFF             // to restore all threads active
s_or_saveexec_b64 vcc, s[32:33]                    // all threads active
s_branch label_0148                                // done shifting


/******************************************/
/* shift d1 r=2 mb=2 vw0                  */
/******************************************/
label_0052: // r2 mb2 vw0 
s_mov_b32 s32, 8                                   // 
_v_cmpx_eq_u32 s[32:33], v4, s32                   // is thread in edge glvw region
v_and_b32 v0, 63, v[vgprSerial]                    // permute register between threads
v_lshlrev_b32 v0, 2, v0                            // permute register between threads
v_accvgpr_read_b32 v5, acc64                       // glvw 2 mb 2 tt1 0 r 0
s_nop 1                                            // v_accvgpr read vgpr after write vgpr: 2 wait states
ds_bpermute_b32 v5, v0, v5, offset:24              // permute edge values
s_waitcnt 0                                        // wait for swizzle operation
v_accvgpr_write_b32 acc64, v5                      // 
v_accvgpr_read_b32 v5, acc65                       // glvw 2 mb 2 tt1 1 r 0
s_nop 1                                            // v_accvgpr read vgpr after write vgpr: 2 wait states
ds_bpermute_b32 v5, v0, v5, offset:24              // permute edge values
s_waitcnt 0                                        // wait for swizzle operation
v_accvgpr_write_b32 acc65, v5                      // 
v_accvgpr_read_b32 v5, acc66                       // glvw 2 mb 2 tt1 2 r 0
s_nop 1                                            // v_accvgpr read vgpr after write vgpr: 2 wait states
ds_bpermute_b32 v5, v0, v5, offset:24              // permute edge values
s_waitcnt 0                                        // wait for swizzle operation
v_accvgpr_write_b32 acc66, v5                      // 
v_accvgpr_read_b32 v5, acc67                       // glvw 2 mb 2 tt1 3 r 0
s_nop 1                                            // v_accvgpr read vgpr after write vgpr: 2 wait states
ds_bpermute_b32 v5, v0, v5, offset:24              // permute edge values
s_waitcnt 0                                        // wait for swizzle operation
v_accvgpr_write_b32 acc67, v5                      // 
v_accvgpr_read_b32 v5, acc68                       // glvw 2 mb 2 tt1 4 r 0
s_nop 1                                            // v_accvgpr read vgpr after write vgpr: 2 wait states
ds_bpermute_b32 v5, v0, v5, offset:24              // permute edge values
s_waitcnt 0                                        // wait for swizzle operation
v_accvgpr_write_b32 acc68, v5                      // 
v_accvgpr_read_b32 v5, acc69                       // glvw 2 mb 2 tt1 5 r 0
s_nop 1                                            // v_accvgpr read vgpr after write vgpr: 2 wait states
ds_bpermute_b32 v5, v0, v5, offset:24              // permute edge values
s_waitcnt 0                                        // wait for swizzle operation
v_accvgpr_write_b32 acc69, v5                      // 
v_accvgpr_read_b32 v5, acc70                       // glvw 2 mb 2 tt1 6 r 0
s_nop 1                                            // v_accvgpr read vgpr after write vgpr: 2 wait states
ds_bpermute_b32 v5, v0, v5, offset:24              // permute edge values
s_waitcnt 0                                        // wait for swizzle operation
v_accvgpr_write_b32 acc70, v5                      // 
v_accvgpr_read_b32 v5, acc71                       // glvw 2 mb 2 tt1 7 r 0
s_nop 1                                            // v_accvgpr read vgpr after write vgpr: 2 wait states
ds_bpermute_b32 v5, v0, v5, offset:24              // permute edge values
s_waitcnt 0                                        // wait for swizzle operation
v_accvgpr_write_b32 acc71, v5                      // 
v_accvgpr_read_b32 v5, acc72                       // glvw 2 mb 2 tt1 8 r 0
s_nop 1                                            // v_accvgpr read vgpr after write vgpr: 2 wait states
ds_bpermute_b32 v5, v0, v5, offset:24              // permute edge values
s_waitcnt 0                                        // wait for swizzle operation
v_accvgpr_write_b32 acc72, v5                      // 
v_accvgpr_read_b32 v5, acc73                       // glvw 2 mb 2 tt1 9 r 0
s_nop 1                                            // v_accvgpr read vgpr after write vgpr: 2 wait states
ds_bpermute_b32 v5, v0, v5, offset:24              // permute edge values
s_waitcnt 0                                        // wait for swizzle operation
v_accvgpr_write_b32 acc73, v5                      // 
v_accvgpr_read_b32 v5, acc74                       // glvw 2 mb 2 tt1 10 r 0
s_nop 1                                            // v_accvgpr read vgpr after write vgpr: 2 wait states
ds_bpermute_b32 v5, v0, v5, offset:24              // permute edge values
s_waitcnt 0                                        // wait for swizzle operation
v_accvgpr_write_b32 acc74, v5                      // 
v_accvgpr_read_b32 v5, acc75                       // glvw 2 mb 2 tt1 11 r 0
s_nop 1                                            // v_accvgpr read vgpr after write vgpr: 2 wait states
ds_bpermute_b32 v5, v0, v5, offset:24              // permute edge values
s_waitcnt 0                                        // wait for swizzle operation
v_accvgpr_write_b32 acc75, v5                      // 
v_accvgpr_read_b32 v5, acc76                       // glvw 2 mb 2 tt1 12 r 0
s_nop 1                                            // v_accvgpr read vgpr after write vgpr: 2 wait states
ds_bpermute_b32 v5, v0, v5, offset:24              // permute edge values
s_waitcnt 0                                        // wait for swizzle operation
v_accvgpr_write_b32 acc76, v5                      // 
v_accvgpr_read_b32 v5, acc77                       // glvw 2 mb 2 tt1 13 r 0
s_nop 1                                            // v_accvgpr read vgpr after write vgpr: 2 wait states
ds_bpermute_b32 v5, v0, v5, offset:24              // permute edge values
s_waitcnt 0                                        // wait for swizzle operation
v_accvgpr_write_b32 acc77, v5                      // 
v_accvgpr_read_b32 v5, acc78                       // glvw 2 mb 2 tt1 14 r 0
s_nop 1                                            // v_accvgpr read vgpr after write vgpr: 2 wait states
ds_bpermute_b32 v5, v0, v5, offset:24              // permute edge values
s_waitcnt 0                                        // wait for swizzle operation
v_accvgpr_write_b32 acc78, v5                      // 
v_accvgpr_read_b32 v5, acc79                       // glvw 2 mb 2 tt1 15 r 0
s_nop 1                                            // v_accvgpr read vgpr after write vgpr: 2 wait states
ds_bpermute_b32 v5, v0, v5, offset:24              // permute edge values
s_waitcnt 0                                        // wait for swizzle operation
v_accvgpr_write_b32 acc79, v5                      // 
v_accvgpr_read_b32 v5, acc80                       // glvw 2 mb 2 tt1 16 r 0
s_nop 1                                            // v_accvgpr read vgpr after write vgpr: 2 wait states
ds_bpermute_b32 v5, v0, v5, offset:24              // permute edge values
s_waitcnt 0                                        // wait for swizzle operation
v_accvgpr_write_b32 acc80, v5                      // 
v_accvgpr_read_b32 v5, acc81                       // glvw 2 mb 2 tt1 17 r 0
s_nop 1                                            // v_accvgpr read vgpr after write vgpr: 2 wait states
ds_bpermute_b32 v5, v0, v5, offset:24              // permute edge values
s_waitcnt 0                                        // wait for swizzle operation
v_accvgpr_write_b32 acc81, v5                      // 
v_accvgpr_read_b32 v5, acc82                       // glvw 2 mb 2 tt1 18 r 0
s_nop 1                                            // v_accvgpr read vgpr after write vgpr: 2 wait states
ds_bpermute_b32 v5, v0, v5, offset:24              // permute edge values
s_waitcnt 0                                        // wait for swizzle operation
v_accvgpr_write_b32 acc82, v5                      // 
v_accvgpr_read_b32 v5, acc83                       // glvw 2 mb 2 tt1 19 r 0
s_nop 1                                            // v_accvgpr read vgpr after write vgpr: 2 wait states
ds_bpermute_b32 v5, v0, v5, offset:24              // permute edge values
s_waitcnt 0                                        // wait for swizzle operation
v_accvgpr_write_b32 acc83, v5                      // 
v_accvgpr_read_b32 v5, acc84                       // glvw 2 mb 2 tt1 20 r 0
s_nop 1                                            // v_accvgpr read vgpr after write vgpr: 2 wait states
ds_bpermute_b32 v5, v0, v5, offset:24              // permute edge values
s_waitcnt 0                                        // wait for swizzle operation
v_accvgpr_write_b32 acc84, v5                      // 
v_accvgpr_read_b32 v5, acc85                       // glvw 2 mb 2 tt1 21 r 0
s_nop 1                                            // v_accvgpr read vgpr after write vgpr: 2 wait states
ds_bpermute_b32 v5, v0, v5, offset:24              // permute edge values
s_waitcnt 0                                        // wait for swizzle operation
v_accvgpr_write_b32 acc85, v5                      // 
v_accvgpr_read_b32 v5, acc86                       // glvw 2 mb 2 tt1 22 r 0
s_nop 1                                            // v_accvgpr read vgpr after write vgpr: 2 wait states
ds_bpermute_b32 v5, v0, v5, offset:24              // permute edge values
s_waitcnt 0                                        // wait for swizzle operation
v_accvgpr_write_b32 acc86, v5                      // 
v_accvgpr_read_b32 v5, acc87                       // glvw 2 mb 2 tt1 23 r 0
s_nop 1                                            // v_accvgpr read vgpr after write vgpr: 2 wait states
ds_bpermute_b32 v5, v0, v5, offset:24              // permute edge values
s_waitcnt 0                                        // wait for swizzle operation
v_accvgpr_write_b32 acc87, v5                      // 
v_accvgpr_read_b32 v5, acc88                       // glvw 2 mb 2 tt1 24 r 0
s_nop 1                                            // v_accvgpr read vgpr after write vgpr: 2 wait states
ds_bpermute_b32 v5, v0, v5, offset:24              // permute edge values
s_waitcnt 0                                        // wait for swizzle operation
v_accvgpr_write_b32 acc88, v5                      // 
v_accvgpr_read_b32 v5, acc89                       // glvw 2 mb 2 tt1 25 r 0
s_nop 1                                            // v_accvgpr read vgpr after write vgpr: 2 wait states
ds_bpermute_b32 v5, v0, v5, offset:24              // permute edge values
s_waitcnt 0                                        // wait for swizzle operation
v_accvgpr_write_b32 acc89, v5                      // 
v_accvgpr_read_b32 v5, acc90                       // glvw 2 mb 2 tt1 26 r 0
s_nop 1                                            // v_accvgpr read vgpr after write vgpr: 2 wait states
ds_bpermute_b32 v5, v0, v5, offset:24              // permute edge values
s_waitcnt 0                                        // wait for swizzle operation
v_accvgpr_write_b32 acc90, v5                      // 
v_accvgpr_read_b32 v5, acc91                       // glvw 2 mb 2 tt1 27 r 0
s_nop 1                                            // v_accvgpr read vgpr after write vgpr: 2 wait states
ds_bpermute_b32 v5, v0, v5, offset:24              // permute edge values
s_waitcnt 0                                        // wait for swizzle operation
v_accvgpr_write_b32 acc91, v5                      // 
v_accvgpr_read_b32 v5, acc92                       // glvw 2 mb 2 tt1 28 r 0
s_nop 1                                            // v_accvgpr read vgpr after write vgpr: 2 wait states
ds_bpermute_b32 v5, v0, v5, offset:24              // permute edge values
s_waitcnt 0                                        // wait for swizzle operation
v_accvgpr_write_b32 acc92, v5                      // 
v_accvgpr_read_b32 v5, acc93                       // glvw 2 mb 2 tt1 29 r 0
s_nop 1                                            // v_accvgpr read vgpr after write vgpr: 2 wait states
ds_bpermute_b32 v5, v0, v5, offset:24              // permute edge values
s_waitcnt 0                                        // wait for swizzle operation
v_accvgpr_write_b32 acc93, v5                      // 
v_accvgpr_read_b32 v5, acc94                       // glvw 2 mb 2 tt1 30 r 0
s_nop 1                                            // v_accvgpr read vgpr after write vgpr: 2 wait states
ds_bpermute_b32 v5, v0, v5, offset:24              // permute edge values
s_waitcnt 0                                        // wait for swizzle operation
v_accvgpr_write_b32 acc94, v5                      // 
v_accvgpr_read_b32 v5, acc95                       // glvw 2 mb 2 tt1 31 r 0
s_nop 1                                            // v_accvgpr read vgpr after write vgpr: 2 wait states
ds_bpermute_b32 v5, v0, v5, offset:24              // permute edge values
s_waitcnt 0                                        // wait for swizzle operation
v_accvgpr_write_b32 acc95, v5                      // 
s_mov_b64 s[32:33], 0xFFFFFFFFFFFFFFFF             // to restore all threads active
s_or_saveexec_b64 vcc, s[32:33]                    // all threads active
s_branch label_0148                                // done shifting


/******************************************/
/* shift d1 r=2 mb=3 vw0                  */
/******************************************/
label_0054: // r2 mb3 vw0 
s_mov_b32 s32, 12                                  // 
_v_cmpx_eq_u32 s[32:33], v4, s32                   // is thread in edge glvw region
v_and_b32 v0, 63, v[vgprSerial]                    // permute register between threads
v_lshlrev_b32 v0, 2, v0                            // permute register between threads
v_accvgpr_read_b32 v5, acc96                       // glvw 2 mb 3 tt1 0 r 0
s_nop 1                                            // v_accvgpr read vgpr after write vgpr: 2 wait states
ds_bpermute_b32 v5, v0, v5, offset:24              // permute edge values
s_waitcnt 0                                        // wait for swizzle operation
v_accvgpr_write_b32 acc96, v5                      // 
v_accvgpr_read_b32 v5, acc97                       // glvw 2 mb 3 tt1 1 r 0
s_nop 1                                            // v_accvgpr read vgpr after write vgpr: 2 wait states
ds_bpermute_b32 v5, v0, v5, offset:24              // permute edge values
s_waitcnt 0                                        // wait for swizzle operation
v_accvgpr_write_b32 acc97, v5                      // 
v_accvgpr_read_b32 v5, acc98                       // glvw 2 mb 3 tt1 2 r 0
s_nop 1                                            // v_accvgpr read vgpr after write vgpr: 2 wait states
ds_bpermute_b32 v5, v0, v5, offset:24              // permute edge values
s_waitcnt 0                                        // wait for swizzle operation
v_accvgpr_write_b32 acc98, v5                      // 
v_accvgpr_read_b32 v5, acc99                       // glvw 2 mb 3 tt1 3 r 0
s_nop 1                                            // v_accvgpr read vgpr after write vgpr: 2 wait states
ds_bpermute_b32 v5, v0, v5, offset:24              // permute edge values
s_waitcnt 0                                        // wait for swizzle operation
v_accvgpr_write_b32 acc99, v5                      // 
v_accvgpr_read_b32 v5, acc100                      // glvw 2 mb 3 tt1 4 r 0
s_nop 1                                            // v_accvgpr read vgpr after write vgpr: 2 wait states
ds_bpermute_b32 v5, v0, v5, offset:24              // permute edge values
s_waitcnt 0                                        // wait for swizzle operation
v_accvgpr_write_b32 acc100, v5                     // 
v_accvgpr_read_b32 v5, acc101                      // glvw 2 mb 3 tt1 5 r 0
s_nop 1                                            // v_accvgpr read vgpr after write vgpr: 2 wait states
ds_bpermute_b32 v5, v0, v5, offset:24              // permute edge values
s_waitcnt 0                                        // wait for swizzle operation
v_accvgpr_write_b32 acc101, v5                     // 
v_accvgpr_read_b32 v5, acc102                      // glvw 2 mb 3 tt1 6 r 0
s_nop 1                                            // v_accvgpr read vgpr after write vgpr: 2 wait states
ds_bpermute_b32 v5, v0, v5, offset:24              // permute edge values
s_waitcnt 0                                        // wait for swizzle operation
v_accvgpr_write_b32 acc102, v5                     // 
v_accvgpr_read_b32 v5, acc103                      // glvw 2 mb 3 tt1 7 r 0
s_nop 1                                            // v_accvgpr read vgpr after write vgpr: 2 wait states
ds_bpermute_b32 v5, v0, v5, offset:24              // permute edge values
s_waitcnt 0                                        // wait for swizzle operation
v_accvgpr_write_b32 acc103, v5                     // 
v_accvgpr_read_b32 v5, acc104                      // glvw 2 mb 3 tt1 8 r 0
s_nop 1                                            // v_accvgpr read vgpr after write vgpr: 2 wait states
ds_bpermute_b32 v5, v0, v5, offset:24              // permute edge values
s_waitcnt 0                                        // wait for swizzle operation
v_accvgpr_write_b32 acc104, v5                     // 
v_accvgpr_read_b32 v5, acc105                      // glvw 2 mb 3 tt1 9 r 0
s_nop 1                                            // v_accvgpr read vgpr after write vgpr: 2 wait states
ds_bpermute_b32 v5, v0, v5, offset:24              // permute edge values
s_waitcnt 0                                        // wait for swizzle operation
v_accvgpr_write_b32 acc105, v5                     // 
v_accvgpr_read_b32 v5, acc106                      // glvw 2 mb 3 tt1 10 r 0
s_nop 1                                            // v_accvgpr read vgpr after write vgpr: 2 wait states
ds_bpermute_b32 v5, v0, v5, offset:24              // permute edge values
s_waitcnt 0                                        // wait for swizzle operation
v_accvgpr_write_b32 acc106, v5                     // 
v_accvgpr_read_b32 v5, acc107                      // glvw 2 mb 3 tt1 11 r 0
s_nop 1                                            // v_accvgpr read vgpr after write vgpr: 2 wait states
ds_bpermute_b32 v5, v0, v5, offset:24              // permute edge values
s_waitcnt 0                                        // wait for swizzle operation
v_accvgpr_write_b32 acc107, v5                     // 
v_accvgpr_read_b32 v5, acc108                      // glvw 2 mb 3 tt1 12 r 0
s_nop 1                                            // v_accvgpr read vgpr after write vgpr: 2 wait states
ds_bpermute_b32 v5, v0, v5, offset:24              // permute edge values
s_waitcnt 0                                        // wait for swizzle operation
v_accvgpr_write_b32 acc108, v5                     // 
v_accvgpr_read_b32 v5, acc109                      // glvw 2 mb 3 tt1 13 r 0
s_nop 1                                            // v_accvgpr read vgpr after write vgpr: 2 wait states
ds_bpermute_b32 v5, v0, v5, offset:24              // permute edge values
s_waitcnt 0                                        // wait for swizzle operation
v_accvgpr_write_b32 acc109, v5                     // 
v_accvgpr_read_b32 v5, acc110                      // glvw 2 mb 3 tt1 14 r 0
s_nop 1                                            // v_accvgpr read vgpr after write vgpr: 2 wait states
ds_bpermute_b32 v5, v0, v5, offset:24              // permute edge values
s_waitcnt 0                                        // wait for swizzle operation
v_accvgpr_write_b32 acc110, v5                     // 
v_accvgpr_read_b32 v5, acc111                      // glvw 2 mb 3 tt1 15 r 0
s_nop 1                                            // v_accvgpr read vgpr after write vgpr: 2 wait states
ds_bpermute_b32 v5, v0, v5, offset:24              // permute edge values
s_waitcnt 0                                        // wait for swizzle operation
v_accvgpr_write_b32 acc111, v5                     // 
v_accvgpr_read_b32 v5, acc112                      // glvw 2 mb 3 tt1 16 r 0
s_nop 1                                            // v_accvgpr read vgpr after write vgpr: 2 wait states
ds_bpermute_b32 v5, v0, v5, offset:24              // permute edge values
s_waitcnt 0                                        // wait for swizzle operation
v_accvgpr_write_b32 acc112, v5                     // 
v_accvgpr_read_b32 v5, acc113                      // glvw 2 mb 3 tt1 17 r 0
s_nop 1                                            // v_accvgpr read vgpr after write vgpr: 2 wait states
ds_bpermute_b32 v5, v0, v5, offset:24              // permute edge values
s_waitcnt 0                                        // wait for swizzle operation
v_accvgpr_write_b32 acc113, v5                     // 
v_accvgpr_read_b32 v5, acc114                      // glvw 2 mb 3 tt1 18 r 0
s_nop 1                                            // v_accvgpr read vgpr after write vgpr: 2 wait states
ds_bpermute_b32 v5, v0, v5, offset:24              // permute edge values
s_waitcnt 0                                        // wait for swizzle operation
v_accvgpr_write_b32 acc114, v5                     // 
v_accvgpr_read_b32 v5, acc115                      // glvw 2 mb 3 tt1 19 r 0
s_nop 1                                            // v_accvgpr read vgpr after write vgpr: 2 wait states
ds_bpermute_b32 v5, v0, v5, offset:24              // permute edge values
s_waitcnt 0                                        // wait for swizzle operation
v_accvgpr_write_b32 acc115, v5                     // 
v_accvgpr_read_b32 v5, acc116                      // glvw 2 mb 3 tt1 20 r 0
s_nop 1                                            // v_accvgpr read vgpr after write vgpr: 2 wait states
ds_bpermute_b32 v5, v0, v5, offset:24              // permute edge values
s_waitcnt 0                                        // wait for swizzle operation
v_accvgpr_write_b32 acc116, v5                     // 
v_accvgpr_read_b32 v5, acc117                      // glvw 2 mb 3 tt1 21 r 0
s_nop 1                                            // v_accvgpr read vgpr after write vgpr: 2 wait states
ds_bpermute_b32 v5, v0, v5, offset:24              // permute edge values
s_waitcnt 0                                        // wait for swizzle operation
v_accvgpr_write_b32 acc117, v5                     // 
v_accvgpr_read_b32 v5, acc118                      // glvw 2 mb 3 tt1 22 r 0
s_nop 1                                            // v_accvgpr read vgpr after write vgpr: 2 wait states
ds_bpermute_b32 v5, v0, v5, offset:24              // permute edge values
s_waitcnt 0                                        // wait for swizzle operation
v_accvgpr_write_b32 acc118, v5                     // 
v_accvgpr_read_b32 v5, acc119                      // glvw 2 mb 3 tt1 23 r 0
s_nop 1                                            // v_accvgpr read vgpr after write vgpr: 2 wait states
ds_bpermute_b32 v5, v0, v5, offset:24              // permute edge values
s_waitcnt 0                                        // wait for swizzle operation
v_accvgpr_write_b32 acc119, v5                     // 
v_accvgpr_read_b32 v5, acc120                      // glvw 2 mb 3 tt1 24 r 0
s_nop 1                                            // v_accvgpr read vgpr after write vgpr: 2 wait states
ds_bpermute_b32 v5, v0, v5, offset:24              // permute edge values
s_waitcnt 0                                        // wait for swizzle operation
v_accvgpr_write_b32 acc120, v5                     // 
v_accvgpr_read_b32 v5, acc121                      // glvw 2 mb 3 tt1 25 r 0
s_nop 1                                            // v_accvgpr read vgpr after write vgpr: 2 wait states
ds_bpermute_b32 v5, v0, v5, offset:24              // permute edge values
s_waitcnt 0                                        // wait for swizzle operation
v_accvgpr_write_b32 acc121, v5                     // 
v_accvgpr_read_b32 v5, acc122                      // glvw 2 mb 3 tt1 26 r 0
s_nop 1                                            // v_accvgpr read vgpr after write vgpr: 2 wait states
ds_bpermute_b32 v5, v0, v5, offset:24              // permute edge values
s_waitcnt 0                                        // wait for swizzle operation
v_accvgpr_write_b32 acc122, v5                     // 
v_accvgpr_read_b32 v5, acc123                      // glvw 2 mb 3 tt1 27 r 0
s_nop 1                                            // v_accvgpr read vgpr after write vgpr: 2 wait states
ds_bpermute_b32 v5, v0, v5, offset:24              // permute edge values
s_waitcnt 0                                        // wait for swizzle operation
v_accvgpr_write_b32 acc123, v5                     // 
v_accvgpr_read_b32 v5, acc124                      // glvw 2 mb 3 tt1 28 r 0
s_nop 1                                            // v_accvgpr read vgpr after write vgpr: 2 wait states
ds_bpermute_b32 v5, v0, v5, offset:24              // permute edge values
s_waitcnt 0                                        // wait for swizzle operation
v_accvgpr_write_b32 acc124, v5                     // 
v_accvgpr_read_b32 v5, acc125                      // glvw 2 mb 3 tt1 29 r 0
s_nop 1                                            // v_accvgpr read vgpr after write vgpr: 2 wait states
ds_bpermute_b32 v5, v0, v5, offset:24              // permute edge values
s_waitcnt 0                                        // wait for swizzle operation
v_accvgpr_write_b32 acc125, v5                     // 
v_accvgpr_read_b32 v5, acc126                      // glvw 2 mb 3 tt1 30 r 0
s_nop 1                                            // v_accvgpr read vgpr after write vgpr: 2 wait states
ds_bpermute_b32 v5, v0, v5, offset:24              // permute edge values
s_waitcnt 0                                        // wait for swizzle operation
v_accvgpr_write_b32 acc126, v5                     // 
v_accvgpr_read_b32 v5, acc127                      // glvw 2 mb 3 tt1 31 r 0
s_nop 1                                            // v_accvgpr read vgpr after write vgpr: 2 wait states
ds_bpermute_b32 v5, v0, v5, offset:24              // permute edge values
s_waitcnt 0                                        // wait for swizzle operation
v_accvgpr_write_b32 acc127, v5                     // 
s_mov_b64 s[32:33], 0xFFFFFFFFFFFFFFFF             // to restore all threads active
s_or_saveexec_b64 vcc, s[32:33]                    // all threads active
s_branch label_0148                                // done shifting


/******************************************/
/* shift d1 r=2 mb=4 vw0                  */
/******************************************/
label_0056: // r2 mb4 vw0 
s_mov_b32 s32, 16                                  // 
_v_cmpx_eq_u32 s[32:33], v4, s32                   // is thread in edge glvw region
v_and_b32 v0, 63, v[vgprSerial]                    // permute register between threads
v_lshlrev_b32 v0, 2, v0                            // permute register between threads
v_accvgpr_read_b32 v5, acc128                      // glvw 2 mb 4 tt1 0 r 0
s_nop 1                                            // v_accvgpr read vgpr after write vgpr: 2 wait states
ds_bpermute_b32 v5, v0, v5, offset:24              // permute edge values
s_waitcnt 0                                        // wait for swizzle operation
v_accvgpr_write_b32 acc128, v5                     // 
v_accvgpr_read_b32 v5, acc129                      // glvw 2 mb 4 tt1 1 r 0
s_nop 1                                            // v_accvgpr read vgpr after write vgpr: 2 wait states
ds_bpermute_b32 v5, v0, v5, offset:24              // permute edge values
s_waitcnt 0                                        // wait for swizzle operation
v_accvgpr_write_b32 acc129, v5                     // 
v_accvgpr_read_b32 v5, acc130                      // glvw 2 mb 4 tt1 2 r 0
s_nop 1                                            // v_accvgpr read vgpr after write vgpr: 2 wait states
ds_bpermute_b32 v5, v0, v5, offset:24              // permute edge values
s_waitcnt 0                                        // wait for swizzle operation
v_accvgpr_write_b32 acc130, v5                     // 
v_accvgpr_read_b32 v5, acc131                      // glvw 2 mb 4 tt1 3 r 0
s_nop 1                                            // v_accvgpr read vgpr after write vgpr: 2 wait states
ds_bpermute_b32 v5, v0, v5, offset:24              // permute edge values
s_waitcnt 0                                        // wait for swizzle operation
v_accvgpr_write_b32 acc131, v5                     // 
v_accvgpr_read_b32 v5, acc132                      // glvw 2 mb 4 tt1 4 r 0
s_nop 1                                            // v_accvgpr read vgpr after write vgpr: 2 wait states
ds_bpermute_b32 v5, v0, v5, offset:24              // permute edge values
s_waitcnt 0                                        // wait for swizzle operation
v_accvgpr_write_b32 acc132, v5                     // 
v_accvgpr_read_b32 v5, acc133                      // glvw 2 mb 4 tt1 5 r 0
s_nop 1                                            // v_accvgpr read vgpr after write vgpr: 2 wait states
ds_bpermute_b32 v5, v0, v5, offset:24              // permute edge values
s_waitcnt 0                                        // wait for swizzle operation
v_accvgpr_write_b32 acc133, v5                     // 
v_accvgpr_read_b32 v5, acc134                      // glvw 2 mb 4 tt1 6 r 0
s_nop 1                                            // v_accvgpr read vgpr after write vgpr: 2 wait states
ds_bpermute_b32 v5, v0, v5, offset:24              // permute edge values
s_waitcnt 0                                        // wait for swizzle operation
v_accvgpr_write_b32 acc134, v5                     // 
v_accvgpr_read_b32 v5, acc135                      // glvw 2 mb 4 tt1 7 r 0
s_nop 1                                            // v_accvgpr read vgpr after write vgpr: 2 wait states
ds_bpermute_b32 v5, v0, v5, offset:24              // permute edge values
s_waitcnt 0                                        // wait for swizzle operation
v_accvgpr_write_b32 acc135, v5                     // 
v_accvgpr_read_b32 v5, acc136                      // glvw 2 mb 4 tt1 8 r 0
s_nop 1                                            // v_accvgpr read vgpr after write vgpr: 2 wait states
ds_bpermute_b32 v5, v0, v5, offset:24              // permute edge values
s_waitcnt 0                                        // wait for swizzle operation
v_accvgpr_write_b32 acc136, v5                     // 
v_accvgpr_read_b32 v5, acc137                      // glvw 2 mb 4 tt1 9 r 0
s_nop 1                                            // v_accvgpr read vgpr after write vgpr: 2 wait states
ds_bpermute_b32 v5, v0, v5, offset:24              // permute edge values
s_waitcnt 0                                        // wait for swizzle operation
v_accvgpr_write_b32 acc137, v5                     // 
v_accvgpr_read_b32 v5, acc138                      // glvw 2 mb 4 tt1 10 r 0
s_nop 1                                            // v_accvgpr read vgpr after write vgpr: 2 wait states
ds_bpermute_b32 v5, v0, v5, offset:24              // permute edge values
s_waitcnt 0                                        // wait for swizzle operation
v_accvgpr_write_b32 acc138, v5                     // 
v_accvgpr_read_b32 v5, acc139                      // glvw 2 mb 4 tt1 11 r 0
s_nop 1                                            // v_accvgpr read vgpr after write vgpr: 2 wait states
ds_bpermute_b32 v5, v0, v5, offset:24              // permute edge values
s_waitcnt 0                                        // wait for swizzle operation
v_accvgpr_write_b32 acc139, v5                     // 
v_accvgpr_read_b32 v5, acc140                      // glvw 2 mb 4 tt1 12 r 0
s_nop 1                                            // v_accvgpr read vgpr after write vgpr: 2 wait states
ds_bpermute_b32 v5, v0, v5, offset:24              // permute edge values
s_waitcnt 0                                        // wait for swizzle operation
v_accvgpr_write_b32 acc140, v5                     // 
v_accvgpr_read_b32 v5, acc141                      // glvw 2 mb 4 tt1 13 r 0
s_nop 1                                            // v_accvgpr read vgpr after write vgpr: 2 wait states
ds_bpermute_b32 v5, v0, v5, offset:24              // permute edge values
s_waitcnt 0                                        // wait for swizzle operation
v_accvgpr_write_b32 acc141, v5                     // 
v_accvgpr_read_b32 v5, acc142                      // glvw 2 mb 4 tt1 14 r 0
s_nop 1                                            // v_accvgpr read vgpr after write vgpr: 2 wait states
ds_bpermute_b32 v5, v0, v5, offset:24              // permute edge values
s_waitcnt 0                                        // wait for swizzle operation
v_accvgpr_write_b32 acc142, v5                     // 
v_accvgpr_read_b32 v5, acc143                      // glvw 2 mb 4 tt1 15 r 0
s_nop 1                                            // v_accvgpr read vgpr after write vgpr: 2 wait states
ds_bpermute_b32 v5, v0, v5, offset:24              // permute edge values
s_waitcnt 0                                        // wait for swizzle operation
v_accvgpr_write_b32 acc143, v5                     // 
v_accvgpr_read_b32 v5, acc144                      // glvw 2 mb 4 tt1 16 r 0
s_nop 1                                            // v_accvgpr read vgpr after write vgpr: 2 wait states
ds_bpermute_b32 v5, v0, v5, offset:24              // permute edge values
s_waitcnt 0                                        // wait for swizzle operation
v_accvgpr_write_b32 acc144, v5                     // 
v_accvgpr_read_b32 v5, acc145                      // glvw 2 mb 4 tt1 17 r 0
s_nop 1                                            // v_accvgpr read vgpr after write vgpr: 2 wait states
ds_bpermute_b32 v5, v0, v5, offset:24              // permute edge values
s_waitcnt 0                                        // wait for swizzle operation
v_accvgpr_write_b32 acc145, v5                     // 
v_accvgpr_read_b32 v5, acc146                      // glvw 2 mb 4 tt1 18 r 0
s_nop 1                                            // v_accvgpr read vgpr after write vgpr: 2 wait states
ds_bpermute_b32 v5, v0, v5, offset:24              // permute edge values
s_waitcnt 0                                        // wait for swizzle operation
v_accvgpr_write_b32 acc146, v5                     // 
v_accvgpr_read_b32 v5, acc147                      // glvw 2 mb 4 tt1 19 r 0
s_nop 1                                            // v_accvgpr read vgpr after write vgpr: 2 wait states
ds_bpermute_b32 v5, v0, v5, offset:24              // permute edge values
s_waitcnt 0                                        // wait for swizzle operation
v_accvgpr_write_b32 acc147, v5                     // 
v_accvgpr_read_b32 v5, acc148                      // glvw 2 mb 4 tt1 20 r 0
s_nop 1                                            // v_accvgpr read vgpr after write vgpr: 2 wait states
ds_bpermute_b32 v5, v0, v5, offset:24              // permute edge values
s_waitcnt 0                                        // wait for swizzle operation
v_accvgpr_write_b32 acc148, v5                     // 
v_accvgpr_read_b32 v5, acc149                      // glvw 2 mb 4 tt1 21 r 0
s_nop 1                                            // v_accvgpr read vgpr after write vgpr: 2 wait states
ds_bpermute_b32 v5, v0, v5, offset:24              // permute edge values
s_waitcnt 0                                        // wait for swizzle operation
v_accvgpr_write_b32 acc149, v5                     // 
v_accvgpr_read_b32 v5, acc150                      // glvw 2 mb 4 tt1 22 r 0
s_nop 1                                            // v_accvgpr read vgpr after write vgpr: 2 wait states
ds_bpermute_b32 v5, v0, v5, offset:24              // permute edge values
s_waitcnt 0                                        // wait for swizzle operation
v_accvgpr_write_b32 acc150, v5                     // 
v_accvgpr_read_b32 v5, acc151                      // glvw 2 mb 4 tt1 23 r 0
s_nop 1                                            // v_accvgpr read vgpr after write vgpr: 2 wait states
ds_bpermute_b32 v5, v0, v5, offset:24              // permute edge values
s_waitcnt 0                                        // wait for swizzle operation
v_accvgpr_write_b32 acc151, v5                     // 
v_accvgpr_read_b32 v5, acc152                      // glvw 2 mb 4 tt1 24 r 0
s_nop 1                                            // v_accvgpr read vgpr after write vgpr: 2 wait states
ds_bpermute_b32 v5, v0, v5, offset:24              // permute edge values
s_waitcnt 0                                        // wait for swizzle operation
v_accvgpr_write_b32 acc152, v5                     // 
v_accvgpr_read_b32 v5, acc153                      // glvw 2 mb 4 tt1 25 r 0
s_nop 1                                            // v_accvgpr read vgpr after write vgpr: 2 wait states
ds_bpermute_b32 v5, v0, v5, offset:24              // permute edge values
s_waitcnt 0                                        // wait for swizzle operation
v_accvgpr_write_b32 acc153, v5                     // 
v_accvgpr_read_b32 v5, acc154                      // glvw 2 mb 4 tt1 26 r 0
s_nop 1                                            // v_accvgpr read vgpr after write vgpr: 2 wait states
ds_bpermute_b32 v5, v0, v5, offset:24              // permute edge values
s_waitcnt 0                                        // wait for swizzle operation
v_accvgpr_write_b32 acc154, v5                     // 
v_accvgpr_read_b32 v5, acc155                      // glvw 2 mb 4 tt1 27 r 0
s_nop 1                                            // v_accvgpr read vgpr after write vgpr: 2 wait states
ds_bpermute_b32 v5, v0, v5, offset:24              // permute edge values
s_waitcnt 0                                        // wait for swizzle operation
v_accvgpr_write_b32 acc155, v5                     // 
v_accvgpr_read_b32 v5, acc156                      // glvw 2 mb 4 tt1 28 r 0
s_nop 1                                            // v_accvgpr read vgpr after write vgpr: 2 wait states
ds_bpermute_b32 v5, v0, v5, offset:24              // permute edge values
s_waitcnt 0                                        // wait for swizzle operation
v_accvgpr_write_b32 acc156, v5                     // 
v_accvgpr_read_b32 v5, acc157                      // glvw 2 mb 4 tt1 29 r 0
s_nop 1                                            // v_accvgpr read vgpr after write vgpr: 2 wait states
ds_bpermute_b32 v5, v0, v5, offset:24              // permute edge values
s_waitcnt 0                                        // wait for swizzle operation
v_accvgpr_write_b32 acc157, v5                     // 
v_accvgpr_read_b32 v5, acc158                      // glvw 2 mb 4 tt1 30 r 0
s_nop 1                                            // v_accvgpr read vgpr after write vgpr: 2 wait states
ds_bpermute_b32 v5, v0, v5, offset:24              // permute edge values
s_waitcnt 0                                        // wait for swizzle operation
v_accvgpr_write_b32 acc158, v5                     // 
v_accvgpr_read_b32 v5, acc159                      // glvw 2 mb 4 tt1 31 r 0
s_nop 1                                            // v_accvgpr read vgpr after write vgpr: 2 wait states
ds_bpermute_b32 v5, v0, v5, offset:24              // permute edge values
s_waitcnt 0                                        // wait for swizzle operation
v_accvgpr_write_b32 acc159, v5                     // 
s_mov_b64 s[32:33], 0xFFFFFFFFFFFFFFFF             // to restore all threads active
s_or_saveexec_b64 vcc, s[32:33]                    // all threads active
s_branch label_0148                                // done shifting


/******************************************/
/* shift d1 r=2 mb=5 vw0                  */
/******************************************/
label_0058: // r2 mb5 vw0 
s_mov_b32 s32, 20                                  // 
_v_cmpx_eq_u32 s[32:33], v4, s32                   // is thread in edge glvw region
v_and_b32 v0, 63, v[vgprSerial]                    // permute register between threads
v_lshlrev_b32 v0, 2, v0                            // permute register between threads
v_accvgpr_read_b32 v5, acc160                      // glvw 2 mb 5 tt1 0 r 0
s_nop 1                                            // v_accvgpr read vgpr after write vgpr: 2 wait states
ds_bpermute_b32 v5, v0, v5, offset:24              // permute edge values
s_waitcnt 0                                        // wait for swizzle operation
v_accvgpr_write_b32 acc160, v5                     // 
v_accvgpr_read_b32 v5, acc161                      // glvw 2 mb 5 tt1 1 r 0
s_nop 1                                            // v_accvgpr read vgpr after write vgpr: 2 wait states
ds_bpermute_b32 v5, v0, v5, offset:24              // permute edge values
s_waitcnt 0                                        // wait for swizzle operation
v_accvgpr_write_b32 acc161, v5                     // 
v_accvgpr_read_b32 v5, acc162                      // glvw 2 mb 5 tt1 2 r 0
s_nop 1                                            // v_accvgpr read vgpr after write vgpr: 2 wait states
ds_bpermute_b32 v5, v0, v5, offset:24              // permute edge values
s_waitcnt 0                                        // wait for swizzle operation
v_accvgpr_write_b32 acc162, v5                     // 
v_accvgpr_read_b32 v5, acc163                      // glvw 2 mb 5 tt1 3 r 0
s_nop 1                                            // v_accvgpr read vgpr after write vgpr: 2 wait states
ds_bpermute_b32 v5, v0, v5, offset:24              // permute edge values
s_waitcnt 0                                        // wait for swizzle operation
v_accvgpr_write_b32 acc163, v5                     // 
v_accvgpr_read_b32 v5, acc164                      // glvw 2 mb 5 tt1 4 r 0
s_nop 1                                            // v_accvgpr read vgpr after write vgpr: 2 wait states
ds_bpermute_b32 v5, v0, v5, offset:24              // permute edge values
s_waitcnt 0                                        // wait for swizzle operation
v_accvgpr_write_b32 acc164, v5                     // 
v_accvgpr_read_b32 v5, acc165                      // glvw 2 mb 5 tt1 5 r 0
s_nop 1                                            // v_accvgpr read vgpr after write vgpr: 2 wait states
ds_bpermute_b32 v5, v0, v5, offset:24              // permute edge values
s_waitcnt 0                                        // wait for swizzle operation
v_accvgpr_write_b32 acc165, v5                     // 
v_accvgpr_read_b32 v5, acc166                      // glvw 2 mb 5 tt1 6 r 0
s_nop 1                                            // v_accvgpr read vgpr after write vgpr: 2 wait states
ds_bpermute_b32 v5, v0, v5, offset:24              // permute edge values
s_waitcnt 0                                        // wait for swizzle operation
v_accvgpr_write_b32 acc166, v5                     // 
v_accvgpr_read_b32 v5, acc167                      // glvw 2 mb 5 tt1 7 r 0
s_nop 1                                            // v_accvgpr read vgpr after write vgpr: 2 wait states
ds_bpermute_b32 v5, v0, v5, offset:24              // permute edge values
s_waitcnt 0                                        // wait for swizzle operation
v_accvgpr_write_b32 acc167, v5                     // 
v_accvgpr_read_b32 v5, acc168                      // glvw 2 mb 5 tt1 8 r 0
s_nop 1                                            // v_accvgpr read vgpr after write vgpr: 2 wait states
ds_bpermute_b32 v5, v0, v5, offset:24              // permute edge values
s_waitcnt 0                                        // wait for swizzle operation
v_accvgpr_write_b32 acc168, v5                     // 
v_accvgpr_read_b32 v5, acc169                      // glvw 2 mb 5 tt1 9 r 0
s_nop 1                                            // v_accvgpr read vgpr after write vgpr: 2 wait states
ds_bpermute_b32 v5, v0, v5, offset:24              // permute edge values
s_waitcnt 0                                        // wait for swizzle operation
v_accvgpr_write_b32 acc169, v5                     // 
v_accvgpr_read_b32 v5, acc170                      // glvw 2 mb 5 tt1 10 r 0
s_nop 1                                            // v_accvgpr read vgpr after write vgpr: 2 wait states
ds_bpermute_b32 v5, v0, v5, offset:24              // permute edge values
s_waitcnt 0                                        // wait for swizzle operation
v_accvgpr_write_b32 acc170, v5                     // 
v_accvgpr_read_b32 v5, acc171                      // glvw 2 mb 5 tt1 11 r 0
s_nop 1                                            // v_accvgpr read vgpr after write vgpr: 2 wait states
ds_bpermute_b32 v5, v0, v5, offset:24              // permute edge values
s_waitcnt 0                                        // wait for swizzle operation
v_accvgpr_write_b32 acc171, v5                     // 
v_accvgpr_read_b32 v5, acc172                      // glvw 2 mb 5 tt1 12 r 0
s_nop 1                                            // v_accvgpr read vgpr after write vgpr: 2 wait states
ds_bpermute_b32 v5, v0, v5, offset:24              // permute edge values
s_waitcnt 0                                        // wait for swizzle operation
v_accvgpr_write_b32 acc172, v5                     // 
v_accvgpr_read_b32 v5, acc173                      // glvw 2 mb 5 tt1 13 r 0
s_nop 1                                            // v_accvgpr read vgpr after write vgpr: 2 wait states
ds_bpermute_b32 v5, v0, v5, offset:24              // permute edge values
s_waitcnt 0                                        // wait for swizzle operation
v_accvgpr_write_b32 acc173, v5                     // 
v_accvgpr_read_b32 v5, acc174                      // glvw 2 mb 5 tt1 14 r 0
s_nop 1                                            // v_accvgpr read vgpr after write vgpr: 2 wait states
ds_bpermute_b32 v5, v0, v5, offset:24              // permute edge values
s_waitcnt 0                                        // wait for swizzle operation
v_accvgpr_write_b32 acc174, v5                     // 
v_accvgpr_read_b32 v5, acc175                      // glvw 2 mb 5 tt1 15 r 0
s_nop 1                                            // v_accvgpr read vgpr after write vgpr: 2 wait states
ds_bpermute_b32 v5, v0, v5, offset:24              // permute edge values
s_waitcnt 0                                        // wait for swizzle operation
v_accvgpr_write_b32 acc175, v5                     // 
v_accvgpr_read_b32 v5, acc176                      // glvw 2 mb 5 tt1 16 r 0
s_nop 1                                            // v_accvgpr read vgpr after write vgpr: 2 wait states
ds_bpermute_b32 v5, v0, v5, offset:24              // permute edge values
s_waitcnt 0                                        // wait for swizzle operation
v_accvgpr_write_b32 acc176, v5                     // 
v_accvgpr_read_b32 v5, acc177                      // glvw 2 mb 5 tt1 17 r 0
s_nop 1                                            // v_accvgpr read vgpr after write vgpr: 2 wait states
ds_bpermute_b32 v5, v0, v5, offset:24              // permute edge values
s_waitcnt 0                                        // wait for swizzle operation
v_accvgpr_write_b32 acc177, v5                     // 
v_accvgpr_read_b32 v5, acc178                      // glvw 2 mb 5 tt1 18 r 0
s_nop 1                                            // v_accvgpr read vgpr after write vgpr: 2 wait states
ds_bpermute_b32 v5, v0, v5, offset:24              // permute edge values
s_waitcnt 0                                        // wait for swizzle operation
v_accvgpr_write_b32 acc178, v5                     // 
v_accvgpr_read_b32 v5, acc179                      // glvw 2 mb 5 tt1 19 r 0
s_nop 1                                            // v_accvgpr read vgpr after write vgpr: 2 wait states
ds_bpermute_b32 v5, v0, v5, offset:24              // permute edge values
s_waitcnt 0                                        // wait for swizzle operation
v_accvgpr_write_b32 acc179, v5                     // 
v_accvgpr_read_b32 v5, acc180                      // glvw 2 mb 5 tt1 20 r 0
s_nop 1                                            // v_accvgpr read vgpr after write vgpr: 2 wait states
ds_bpermute_b32 v5, v0, v5, offset:24              // permute edge values
s_waitcnt 0                                        // wait for swizzle operation
v_accvgpr_write_b32 acc180, v5                     // 
v_accvgpr_read_b32 v5, acc181                      // glvw 2 mb 5 tt1 21 r 0
s_nop 1                                            // v_accvgpr read vgpr after write vgpr: 2 wait states
ds_bpermute_b32 v5, v0, v5, offset:24              // permute edge values
s_waitcnt 0                                        // wait for swizzle operation
v_accvgpr_write_b32 acc181, v5                     // 
v_accvgpr_read_b32 v5, acc182                      // glvw 2 mb 5 tt1 22 r 0
s_nop 1                                            // v_accvgpr read vgpr after write vgpr: 2 wait states
ds_bpermute_b32 v5, v0, v5, offset:24              // permute edge values
s_waitcnt 0                                        // wait for swizzle operation
v_accvgpr_write_b32 acc182, v5                     // 
v_accvgpr_read_b32 v5, acc183                      // glvw 2 mb 5 tt1 23 r 0
s_nop 1                                            // v_accvgpr read vgpr after write vgpr: 2 wait states
ds_bpermute_b32 v5, v0, v5, offset:24              // permute edge values
s_waitcnt 0                                        // wait for swizzle operation
v_accvgpr_write_b32 acc183, v5                     // 
v_accvgpr_read_b32 v5, acc184                      // glvw 2 mb 5 tt1 24 r 0
s_nop 1                                            // v_accvgpr read vgpr after write vgpr: 2 wait states
ds_bpermute_b32 v5, v0, v5, offset:24              // permute edge values
s_waitcnt 0                                        // wait for swizzle operation
v_accvgpr_write_b32 acc184, v5                     // 
v_accvgpr_read_b32 v5, acc185                      // glvw 2 mb 5 tt1 25 r 0
s_nop 1                                            // v_accvgpr read vgpr after write vgpr: 2 wait states
ds_bpermute_b32 v5, v0, v5, offset:24              // permute edge values
s_waitcnt 0                                        // wait for swizzle operation
v_accvgpr_write_b32 acc185, v5                     // 
v_accvgpr_read_b32 v5, acc186                      // glvw 2 mb 5 tt1 26 r 0
s_nop 1                                            // v_accvgpr read vgpr after write vgpr: 2 wait states
ds_bpermute_b32 v5, v0, v5, offset:24              // permute edge values
s_waitcnt 0                                        // wait for swizzle operation
v_accvgpr_write_b32 acc186, v5                     // 
v_accvgpr_read_b32 v5, acc187                      // glvw 2 mb 5 tt1 27 r 0
s_nop 1                                            // v_accvgpr read vgpr after write vgpr: 2 wait states
ds_bpermute_b32 v5, v0, v5, offset:24              // permute edge values
s_waitcnt 0                                        // wait for swizzle operation
v_accvgpr_write_b32 acc187, v5                     // 
v_accvgpr_read_b32 v5, acc188                      // glvw 2 mb 5 tt1 28 r 0
s_nop 1                                            // v_accvgpr read vgpr after write vgpr: 2 wait states
ds_bpermute_b32 v5, v0, v5, offset:24              // permute edge values
s_waitcnt 0                                        // wait for swizzle operation
v_accvgpr_write_b32 acc188, v5                     // 
v_accvgpr_read_b32 v5, acc189                      // glvw 2 mb 5 tt1 29 r 0
s_nop 1                                            // v_accvgpr read vgpr after write vgpr: 2 wait states
ds_bpermute_b32 v5, v0, v5, offset:24              // permute edge values
s_waitcnt 0                                        // wait for swizzle operation
v_accvgpr_write_b32 acc189, v5                     // 
v_accvgpr_read_b32 v5, acc190                      // glvw 2 mb 5 tt1 30 r 0
s_nop 1                                            // v_accvgpr read vgpr after write vgpr: 2 wait states
ds_bpermute_b32 v5, v0, v5, offset:24              // permute edge values
s_waitcnt 0                                        // wait for swizzle operation
v_accvgpr_write_b32 acc190, v5                     // 
v_accvgpr_read_b32 v5, acc191                      // glvw 2 mb 5 tt1 31 r 0
s_nop 1                                            // v_accvgpr read vgpr after write vgpr: 2 wait states
ds_bpermute_b32 v5, v0, v5, offset:24              // permute edge values
s_waitcnt 0                                        // wait for swizzle operation
v_accvgpr_write_b32 acc191, v5                     // 
s_mov_b64 s[32:33], 0xFFFFFFFFFFFFFFFF             // to restore all threads active
s_or_saveexec_b64 vcc, s[32:33]                    // all threads active
s_branch label_0148                                // done shifting


/******************************************/
/* shift d1 r=2 mb=6 vw0                  */
/******************************************/
label_0060: // r2 mb6 vw0 
s_mov_b32 s32, 24                                  // 
_v_cmpx_eq_u32 s[32:33], v4, s32                   // is thread in edge glvw region
v_and_b32 v0, 63, v[vgprSerial]                    // permute register between threads
v_lshlrev_b32 v0, 2, v0                            // permute register between threads
v_accvgpr_read_b32 v5, acc192                      // glvw 2 mb 6 tt1 0 r 0
s_nop 1                                            // v_accvgpr read vgpr after write vgpr: 2 wait states
ds_bpermute_b32 v5, v0, v5, offset:24              // permute edge values
s_waitcnt 0                                        // wait for swizzle operation
v_accvgpr_write_b32 acc192, v5                     // 
v_accvgpr_read_b32 v5, acc193                      // glvw 2 mb 6 tt1 1 r 0
s_nop 1                                            // v_accvgpr read vgpr after write vgpr: 2 wait states
ds_bpermute_b32 v5, v0, v5, offset:24              // permute edge values
s_waitcnt 0                                        // wait for swizzle operation
v_accvgpr_write_b32 acc193, v5                     // 
v_accvgpr_read_b32 v5, acc194                      // glvw 2 mb 6 tt1 2 r 0
s_nop 1                                            // v_accvgpr read vgpr after write vgpr: 2 wait states
ds_bpermute_b32 v5, v0, v5, offset:24              // permute edge values
s_waitcnt 0                                        // wait for swizzle operation
v_accvgpr_write_b32 acc194, v5                     // 
v_accvgpr_read_b32 v5, acc195                      // glvw 2 mb 6 tt1 3 r 0
s_nop 1                                            // v_accvgpr read vgpr after write vgpr: 2 wait states
ds_bpermute_b32 v5, v0, v5, offset:24              // permute edge values
s_waitcnt 0                                        // wait for swizzle operation
v_accvgpr_write_b32 acc195, v5                     // 
v_accvgpr_read_b32 v5, acc196                      // glvw 2 mb 6 tt1 4 r 0
s_nop 1                                            // v_accvgpr read vgpr after write vgpr: 2 wait states
ds_bpermute_b32 v5, v0, v5, offset:24              // permute edge values
s_waitcnt 0                                        // wait for swizzle operation
v_accvgpr_write_b32 acc196, v5                     // 
v_accvgpr_read_b32 v5, acc197                      // glvw 2 mb 6 tt1 5 r 0
s_nop 1                                            // v_accvgpr read vgpr after write vgpr: 2 wait states
ds_bpermute_b32 v5, v0, v5, offset:24              // permute edge values
s_waitcnt 0                                        // wait for swizzle operation
v_accvgpr_write_b32 acc197, v5                     // 
v_accvgpr_read_b32 v5, acc198                      // glvw 2 mb 6 tt1 6 r 0
s_nop 1                                            // v_accvgpr read vgpr after write vgpr: 2 wait states
ds_bpermute_b32 v5, v0, v5, offset:24              // permute edge values
s_waitcnt 0                                        // wait for swizzle operation
v_accvgpr_write_b32 acc198, v5                     // 
v_accvgpr_read_b32 v5, acc199                      // glvw 2 mb 6 tt1 7 r 0
s_nop 1                                            // v_accvgpr read vgpr after write vgpr: 2 wait states
ds_bpermute_b32 v5, v0, v5, offset:24              // permute edge values
s_waitcnt 0                                        // wait for swizzle operation
v_accvgpr_write_b32 acc199, v5                     // 
v_accvgpr_read_b32 v5, acc200                      // glvw 2 mb 6 tt1 8 r 0
s_nop 1                                            // v_accvgpr read vgpr after write vgpr: 2 wait states
ds_bpermute_b32 v5, v0, v5, offset:24              // permute edge values
s_waitcnt 0                                        // wait for swizzle operation
v_accvgpr_write_b32 acc200, v5                     // 
v_accvgpr_read_b32 v5, acc201                      // glvw 2 mb 6 tt1 9 r 0
s_nop 1                                            // v_accvgpr read vgpr after write vgpr: 2 wait states
ds_bpermute_b32 v5, v0, v5, offset:24              // permute edge values
s_waitcnt 0                                        // wait for swizzle operation
v_accvgpr_write_b32 acc201, v5                     // 
v_accvgpr_read_b32 v5, acc202                      // glvw 2 mb 6 tt1 10 r 0
s_nop 1                                            // v_accvgpr read vgpr after write vgpr: 2 wait states
ds_bpermute_b32 v5, v0, v5, offset:24              // permute edge values
s_waitcnt 0                                        // wait for swizzle operation
v_accvgpr_write_b32 acc202, v5                     // 
v_accvgpr_read_b32 v5, acc203                      // glvw 2 mb 6 tt1 11 r 0
s_nop 1                                            // v_accvgpr read vgpr after write vgpr: 2 wait states
ds_bpermute_b32 v5, v0, v5, offset:24              // permute edge values
s_waitcnt 0                                        // wait for swizzle operation
v_accvgpr_write_b32 acc203, v5                     // 
v_accvgpr_read_b32 v5, acc204                      // glvw 2 mb 6 tt1 12 r 0
s_nop 1                                            // v_accvgpr read vgpr after write vgpr: 2 wait states
ds_bpermute_b32 v5, v0, v5, offset:24              // permute edge values
s_waitcnt 0                                        // wait for swizzle operation
v_accvgpr_write_b32 acc204, v5                     // 
v_accvgpr_read_b32 v5, acc205                      // glvw 2 mb 6 tt1 13 r 0
s_nop 1                                            // v_accvgpr read vgpr after write vgpr: 2 wait states
ds_bpermute_b32 v5, v0, v5, offset:24              // permute edge values
s_waitcnt 0                                        // wait for swizzle operation
v_accvgpr_write_b32 acc205, v5                     // 
v_accvgpr_read_b32 v5, acc206                      // glvw 2 mb 6 tt1 14 r 0
s_nop 1                                            // v_accvgpr read vgpr after write vgpr: 2 wait states
ds_bpermute_b32 v5, v0, v5, offset:24              // permute edge values
s_waitcnt 0                                        // wait for swizzle operation
v_accvgpr_write_b32 acc206, v5                     // 
v_accvgpr_read_b32 v5, acc207                      // glvw 2 mb 6 tt1 15 r 0
s_nop 1                                            // v_accvgpr read vgpr after write vgpr: 2 wait states
ds_bpermute_b32 v5, v0, v5, offset:24              // permute edge values
s_waitcnt 0                                        // wait for swizzle operation
v_accvgpr_write_b32 acc207, v5                     // 
v_accvgpr_read_b32 v5, acc208                      // glvw 2 mb 6 tt1 16 r 0
s_nop 1                                            // v_accvgpr read vgpr after write vgpr: 2 wait states
ds_bpermute_b32 v5, v0, v5, offset:24              // permute edge values
s_waitcnt 0                                        // wait for swizzle operation
v_accvgpr_write_b32 acc208, v5                     // 
v_accvgpr_read_b32 v5, acc209                      // glvw 2 mb 6 tt1 17 r 0
s_nop 1                                            // v_accvgpr read vgpr after write vgpr: 2 wait states
ds_bpermute_b32 v5, v0, v5, offset:24              // permute edge values
s_waitcnt 0                                        // wait for swizzle operation
v_accvgpr_write_b32 acc209, v5                     // 
v_accvgpr_read_b32 v5, acc210                      // glvw 2 mb 6 tt1 18 r 0
s_nop 1                                            // v_accvgpr read vgpr after write vgpr: 2 wait states
ds_bpermute_b32 v5, v0, v5, offset:24              // permute edge values
s_waitcnt 0                                        // wait for swizzle operation
v_accvgpr_write_b32 acc210, v5                     // 
v_accvgpr_read_b32 v5, acc211                      // glvw 2 mb 6 tt1 19 r 0
s_nop 1                                            // v_accvgpr read vgpr after write vgpr: 2 wait states
ds_bpermute_b32 v5, v0, v5, offset:24              // permute edge values
s_waitcnt 0                                        // wait for swizzle operation
v_accvgpr_write_b32 acc211, v5                     // 
v_accvgpr_read_b32 v5, acc212                      // glvw 2 mb 6 tt1 20 r 0
s_nop 1                                            // v_accvgpr read vgpr after write vgpr: 2 wait states
ds_bpermute_b32 v5, v0, v5, offset:24              // permute edge values
s_waitcnt 0                                        // wait for swizzle operation
v_accvgpr_write_b32 acc212, v5                     // 
v_accvgpr_read_b32 v5, acc213                      // glvw 2 mb 6 tt1 21 r 0
s_nop 1                                            // v_accvgpr read vgpr after write vgpr: 2 wait states
ds_bpermute_b32 v5, v0, v5, offset:24              // permute edge values
s_waitcnt 0                                        // wait for swizzle operation
v_accvgpr_write_b32 acc213, v5                     // 
v_accvgpr_read_b32 v5, acc214                      // glvw 2 mb 6 tt1 22 r 0
s_nop 1                                            // v_accvgpr read vgpr after write vgpr: 2 wait states
ds_bpermute_b32 v5, v0, v5, offset:24              // permute edge values
s_waitcnt 0                                        // wait for swizzle operation
v_accvgpr_write_b32 acc214, v5                     // 
v_accvgpr_read_b32 v5, acc215                      // glvw 2 mb 6 tt1 23 r 0
s_nop 1                                            // v_accvgpr read vgpr after write vgpr: 2 wait states
ds_bpermute_b32 v5, v0, v5, offset:24              // permute edge values
s_waitcnt 0                                        // wait for swizzle operation
v_accvgpr_write_b32 acc215, v5                     // 
v_accvgpr_read_b32 v5, acc216                      // glvw 2 mb 6 tt1 24 r 0
s_nop 1                                            // v_accvgpr read vgpr after write vgpr: 2 wait states
ds_bpermute_b32 v5, v0, v5, offset:24              // permute edge values
s_waitcnt 0                                        // wait for swizzle operation
v_accvgpr_write_b32 acc216, v5                     // 
v_accvgpr_read_b32 v5, acc217                      // glvw 2 mb 6 tt1 25 r 0
s_nop 1                                            // v_accvgpr read vgpr after write vgpr: 2 wait states
ds_bpermute_b32 v5, v0, v5, offset:24              // permute edge values
s_waitcnt 0                                        // wait for swizzle operation
v_accvgpr_write_b32 acc217, v5                     // 
v_accvgpr_read_b32 v5, acc218                      // glvw 2 mb 6 tt1 26 r 0
s_nop 1                                            // v_accvgpr read vgpr after write vgpr: 2 wait states
ds_bpermute_b32 v5, v0, v5, offset:24              // permute edge values
s_waitcnt 0                                        // wait for swizzle operation
v_accvgpr_write_b32 acc218, v5                     // 
v_accvgpr_read_b32 v5, acc219                      // glvw 2 mb 6 tt1 27 r 0
s_nop 1                                            // v_accvgpr read vgpr after write vgpr: 2 wait states
ds_bpermute_b32 v5, v0, v5, offset:24              // permute edge values
s_waitcnt 0                                        // wait for swizzle operation
v_accvgpr_write_b32 acc219, v5                     // 
v_accvgpr_read_b32 v5, acc220                      // glvw 2 mb 6 tt1 28 r 0
s_nop 1                                            // v_accvgpr read vgpr after write vgpr: 2 wait states
ds_bpermute_b32 v5, v0, v5, offset:24              // permute edge values
s_waitcnt 0                                        // wait for swizzle operation
v_accvgpr_write_b32 acc220, v5                     // 
v_accvgpr_read_b32 v5, acc221                      // glvw 2 mb 6 tt1 29 r 0
s_nop 1                                            // v_accvgpr read vgpr after write vgpr: 2 wait states
ds_bpermute_b32 v5, v0, v5, offset:24              // permute edge values
s_waitcnt 0                                        // wait for swizzle operation
v_accvgpr_write_b32 acc221, v5                     // 
v_accvgpr_read_b32 v5, acc222                      // glvw 2 mb 6 tt1 30 r 0
s_nop 1                                            // v_accvgpr read vgpr after write vgpr: 2 wait states
ds_bpermute_b32 v5, v0, v5, offset:24              // permute edge values
s_waitcnt 0                                        // wait for swizzle operation
v_accvgpr_write_b32 acc222, v5                     // 
v_accvgpr_read_b32 v5, acc223                      // glvw 2 mb 6 tt1 31 r 0
s_nop 1                                            // v_accvgpr read vgpr after write vgpr: 2 wait states
ds_bpermute_b32 v5, v0, v5, offset:24              // permute edge values
s_waitcnt 0                                        // wait for swizzle operation
v_accvgpr_write_b32 acc223, v5                     // 
s_mov_b64 s[32:33], 0xFFFFFFFFFFFFFFFF             // to restore all threads active
s_or_saveexec_b64 vcc, s[32:33]                    // all threads active
s_branch label_0148                                // done shifting


/******************************************/
/* shift d1 r=2 mb=7 vw0                  */
/******************************************/
label_0062: // r2 mb7 vw0 
s_mov_b32 s32, 28                                  // 
_v_cmpx_eq_u32 s[32:33], v4, s32                   // is thread in edge glvw region
v_and_b32 v0, 63, v[vgprSerial]                    // permute register between threads
v_lshlrev_b32 v0, 2, v0                            // permute register between threads
v_accvgpr_read_b32 v5, acc224                      // glvw 2 mb 7 tt1 0 r 0
s_nop 1                                            // v_accvgpr read vgpr after write vgpr: 2 wait states
ds_bpermute_b32 v5, v0, v5, offset:24              // permute edge values
s_waitcnt 0                                        // wait for swizzle operation
v_accvgpr_write_b32 acc224, v5                     // 
v_accvgpr_read_b32 v5, acc225                      // glvw 2 mb 7 tt1 1 r 0
s_nop 1                                            // v_accvgpr read vgpr after write vgpr: 2 wait states
ds_bpermute_b32 v5, v0, v5, offset:24              // permute edge values
s_waitcnt 0                                        // wait for swizzle operation
v_accvgpr_write_b32 acc225, v5                     // 
v_accvgpr_read_b32 v5, acc226                      // glvw 2 mb 7 tt1 2 r 0
s_nop 1                                            // v_accvgpr read vgpr after write vgpr: 2 wait states
ds_bpermute_b32 v5, v0, v5, offset:24              // permute edge values
s_waitcnt 0                                        // wait for swizzle operation
v_accvgpr_write_b32 acc226, v5                     // 
v_accvgpr_read_b32 v5, acc227                      // glvw 2 mb 7 tt1 3 r 0
s_nop 1                                            // v_accvgpr read vgpr after write vgpr: 2 wait states
ds_bpermute_b32 v5, v0, v5, offset:24              // permute edge values
s_waitcnt 0                                        // wait for swizzle operation
v_accvgpr_write_b32 acc227, v5                     // 
v_accvgpr_read_b32 v5, acc228                      // glvw 2 mb 7 tt1 4 r 0
s_nop 1                                            // v_accvgpr read vgpr after write vgpr: 2 wait states
ds_bpermute_b32 v5, v0, v5, offset:24              // permute edge values
s_waitcnt 0                                        // wait for swizzle operation
v_accvgpr_write_b32 acc228, v5                     // 
v_accvgpr_read_b32 v5, acc229                      // glvw 2 mb 7 tt1 5 r 0
s_nop 1                                            // v_accvgpr read vgpr after write vgpr: 2 wait states
ds_bpermute_b32 v5, v0, v5, offset:24              // permute edge values
s_waitcnt 0                                        // wait for swizzle operation
v_accvgpr_write_b32 acc229, v5                     // 
v_accvgpr_read_b32 v5, acc230                      // glvw 2 mb 7 tt1 6 r 0
s_nop 1                                            // v_accvgpr read vgpr after write vgpr: 2 wait states
ds_bpermute_b32 v5, v0, v5, offset:24              // permute edge values
s_waitcnt 0                                        // wait for swizzle operation
v_accvgpr_write_b32 acc230, v5                     // 
v_accvgpr_read_b32 v5, acc231                      // glvw 2 mb 7 tt1 7 r 0
s_nop 1                                            // v_accvgpr read vgpr after write vgpr: 2 wait states
ds_bpermute_b32 v5, v0, v5, offset:24              // permute edge values
s_waitcnt 0                                        // wait for swizzle operation
v_accvgpr_write_b32 acc231, v5                     // 
v_accvgpr_read_b32 v5, acc232                      // glvw 2 mb 7 tt1 8 r 0
s_nop 1                                            // v_accvgpr read vgpr after write vgpr: 2 wait states
ds_bpermute_b32 v5, v0, v5, offset:24              // permute edge values
s_waitcnt 0                                        // wait for swizzle operation
v_accvgpr_write_b32 acc232, v5                     // 
v_accvgpr_read_b32 v5, acc233                      // glvw 2 mb 7 tt1 9 r 0
s_nop 1                                            // v_accvgpr read vgpr after write vgpr: 2 wait states
ds_bpermute_b32 v5, v0, v5, offset:24              // permute edge values
s_waitcnt 0                                        // wait for swizzle operation
v_accvgpr_write_b32 acc233, v5                     // 
v_accvgpr_read_b32 v5, acc234                      // glvw 2 mb 7 tt1 10 r 0
s_nop 1                                            // v_accvgpr read vgpr after write vgpr: 2 wait states
ds_bpermute_b32 v5, v0, v5, offset:24              // permute edge values
s_waitcnt 0                                        // wait for swizzle operation
v_accvgpr_write_b32 acc234, v5                     // 
v_accvgpr_read_b32 v5, acc235                      // glvw 2 mb 7 tt1 11 r 0
s_nop 1                                            // v_accvgpr read vgpr after write vgpr: 2 wait states
ds_bpermute_b32 v5, v0, v5, offset:24              // permute edge values
s_waitcnt 0                                        // wait for swizzle operation
v_accvgpr_write_b32 acc235, v5                     // 
v_accvgpr_read_b32 v5, acc236                      // glvw 2 mb 7 tt1 12 r 0
s_nop 1                                            // v_accvgpr read vgpr after write vgpr: 2 wait states
ds_bpermute_b32 v5, v0, v5, offset:24              // permute edge values
s_waitcnt 0                                        // wait for swizzle operation
v_accvgpr_write_b32 acc236, v5                     // 
v_accvgpr_read_b32 v5, acc237                      // glvw 2 mb 7 tt1 13 r 0
s_nop 1                                            // v_accvgpr read vgpr after write vgpr: 2 wait states
ds_bpermute_b32 v5, v0, v5, offset:24              // permute edge values
s_waitcnt 0                                        // wait for swizzle operation
v_accvgpr_write_b32 acc237, v5                     // 
v_accvgpr_read_b32 v5, acc238                      // glvw 2 mb 7 tt1 14 r 0
s_nop 1                                            // v_accvgpr read vgpr after write vgpr: 2 wait states
ds_bpermute_b32 v5, v0, v5, offset:24              // permute edge values
s_waitcnt 0                                        // wait for swizzle operation
v_accvgpr_write_b32 acc238, v5                     // 
v_accvgpr_read_b32 v5, acc239                      // glvw 2 mb 7 tt1 15 r 0
s_nop 1                                            // v_accvgpr read vgpr after write vgpr: 2 wait states
ds_bpermute_b32 v5, v0, v5, offset:24              // permute edge values
s_waitcnt 0                                        // wait for swizzle operation
v_accvgpr_write_b32 acc239, v5                     // 
v_accvgpr_read_b32 v5, acc240                      // glvw 2 mb 7 tt1 16 r 0
s_nop 1                                            // v_accvgpr read vgpr after write vgpr: 2 wait states
ds_bpermute_b32 v5, v0, v5, offset:24              // permute edge values
s_waitcnt 0                                        // wait for swizzle operation
v_accvgpr_write_b32 acc240, v5                     // 
v_accvgpr_read_b32 v5, acc241                      // glvw 2 mb 7 tt1 17 r 0
s_nop 1                                            // v_accvgpr read vgpr after write vgpr: 2 wait states
ds_bpermute_b32 v5, v0, v5, offset:24              // permute edge values
s_waitcnt 0                                        // wait for swizzle operation
v_accvgpr_write_b32 acc241, v5                     // 
v_accvgpr_read_b32 v5, acc242                      // glvw 2 mb 7 tt1 18 r 0
s_nop 1                                            // v_accvgpr read vgpr after write vgpr: 2 wait states
ds_bpermute_b32 v5, v0, v5, offset:24              // permute edge values
s_waitcnt 0                                        // wait for swizzle operation
v_accvgpr_write_b32 acc242, v5                     // 
v_accvgpr_read_b32 v5, acc243                      // glvw 2 mb 7 tt1 19 r 0
s_nop 1                                            // v_accvgpr read vgpr after write vgpr: 2 wait states
ds_bpermute_b32 v5, v0, v5, offset:24              // permute edge values
s_waitcnt 0                                        // wait for swizzle operation
v_accvgpr_write_b32 acc243, v5                     // 
v_accvgpr_read_b32 v5, acc244                      // glvw 2 mb 7 tt1 20 r 0
s_nop 1                                            // v_accvgpr read vgpr after write vgpr: 2 wait states
ds_bpermute_b32 v5, v0, v5, offset:24              // permute edge values
s_waitcnt 0                                        // wait for swizzle operation
v_accvgpr_write_b32 acc244, v5                     // 
v_accvgpr_read_b32 v5, acc245                      // glvw 2 mb 7 tt1 21 r 0
s_nop 1                                            // v_accvgpr read vgpr after write vgpr: 2 wait states
ds_bpermute_b32 v5, v0, v5, offset:24              // permute edge values
s_waitcnt 0                                        // wait for swizzle operation
v_accvgpr_write_b32 acc245, v5                     // 
v_accvgpr_read_b32 v5, acc246                      // glvw 2 mb 7 tt1 22 r 0
s_nop 1                                            // v_accvgpr read vgpr after write vgpr: 2 wait states
ds_bpermute_b32 v5, v0, v5, offset:24              // permute edge values
s_waitcnt 0                                        // wait for swizzle operation
v_accvgpr_write_b32 acc246, v5                     // 
v_accvgpr_read_b32 v5, acc247                      // glvw 2 mb 7 tt1 23 r 0
s_nop 1                                            // v_accvgpr read vgpr after write vgpr: 2 wait states
ds_bpermute_b32 v5, v0, v5, offset:24              // permute edge values
s_waitcnt 0                                        // wait for swizzle operation
v_accvgpr_write_b32 acc247, v5                     // 
v_accvgpr_read_b32 v5, acc248                      // glvw 2 mb 7 tt1 24 r 0
s_nop 1                                            // v_accvgpr read vgpr after write vgpr: 2 wait states
ds_bpermute_b32 v5, v0, v5, offset:24              // permute edge values
s_waitcnt 0                                        // wait for swizzle operation
v_accvgpr_write_b32 acc248, v5                     // 
v_accvgpr_read_b32 v5, acc249                      // glvw 2 mb 7 tt1 25 r 0
s_nop 1                                            // v_accvgpr read vgpr after write vgpr: 2 wait states
ds_bpermute_b32 v5, v0, v5, offset:24              // permute edge values
s_waitcnt 0                                        // wait for swizzle operation
v_accvgpr_write_b32 acc249, v5                     // 
v_accvgpr_read_b32 v5, acc250                      // glvw 2 mb 7 tt1 26 r 0
s_nop 1                                            // v_accvgpr read vgpr after write vgpr: 2 wait states
ds_bpermute_b32 v5, v0, v5, offset:24              // permute edge values
s_waitcnt 0                                        // wait for swizzle operation
v_accvgpr_write_b32 acc250, v5                     // 
v_accvgpr_read_b32 v5, acc251                      // glvw 2 mb 7 tt1 27 r 0
s_nop 1                                            // v_accvgpr read vgpr after write vgpr: 2 wait states
ds_bpermute_b32 v5, v0, v5, offset:24              // permute edge values
s_waitcnt 0                                        // wait for swizzle operation
v_accvgpr_write_b32 acc251, v5                     // 
v_accvgpr_read_b32 v5, acc252                      // glvw 2 mb 7 tt1 28 r 0
s_nop 1                                            // v_accvgpr read vgpr after write vgpr: 2 wait states
ds_bpermute_b32 v5, v0, v5, offset:24              // permute edge values
s_waitcnt 0                                        // wait for swizzle operation
v_accvgpr_write_b32 acc252, v5                     // 
v_accvgpr_read_b32 v5, acc253                      // glvw 2 mb 7 tt1 29 r 0
s_nop 1                                            // v_accvgpr read vgpr after write vgpr: 2 wait states
ds_bpermute_b32 v5, v0, v5, offset:24              // permute edge values
s_waitcnt 0                                        // wait for swizzle operation
v_accvgpr_write_b32 acc253, v5                     // 
v_accvgpr_read_b32 v5, acc254                      // glvw 2 mb 7 tt1 30 r 0
s_nop 1                                            // v_accvgpr read vgpr after write vgpr: 2 wait states
ds_bpermute_b32 v5, v0, v5, offset:24              // permute edge values
s_waitcnt 0                                        // wait for swizzle operation
v_accvgpr_write_b32 acc254, v5                     // 
v_accvgpr_read_b32 v5, acc255                      // glvw 2 mb 7 tt1 31 r 0
s_nop 1                                            // v_accvgpr read vgpr after write vgpr: 2 wait states
ds_bpermute_b32 v5, v0, v5, offset:24              // permute edge values
s_waitcnt 0                                        // wait for swizzle operation
v_accvgpr_write_b32 acc255, v5                     // 
s_mov_b64 s[32:33], 0xFFFFFFFFFFFFFFFF             // to restore all threads active
s_or_saveexec_b64 vcc, s[32:33]                    // all threads active
s_branch label_0148                                // done shifting


/******************************************/
/* shift d1 r=3 mb=0 vw0                  */
/******************************************/
label_0065: // r3 mb0 vw0 
s_mov_b32 s32, 0                                   // 
_v_cmpx_eq_u32 s[32:33], v4, s32                   // is thread in edge glvw region
v_and_b32 v0, 63, v[vgprSerial]                    // permute register between threads
v_lshlrev_b32 v0, 2, v0                            // permute register between threads
v_accvgpr_read_b32 v5, acc0                        // glvw 3 mb 0 tt1 0 r 0
s_nop 1                                            // v_accvgpr read vgpr after write vgpr: 2 wait states
ds_bpermute_b32 v5, v0, v5, offset:20              // permute edge values
s_waitcnt 0                                        // wait for swizzle operation
v_accvgpr_write_b32 acc0, v5                       // 
v_accvgpr_read_b32 v5, acc1                        // glvw 3 mb 0 tt1 1 r 0
s_nop 1                                            // v_accvgpr read vgpr after write vgpr: 2 wait states
ds_bpermute_b32 v5, v0, v5, offset:20              // permute edge values
s_waitcnt 0                                        // wait for swizzle operation
v_accvgpr_write_b32 acc1, v5                       // 
v_accvgpr_read_b32 v5, acc2                        // glvw 3 mb 0 tt1 2 r 0
s_nop 1                                            // v_accvgpr read vgpr after write vgpr: 2 wait states
ds_bpermute_b32 v5, v0, v5, offset:20              // permute edge values
s_waitcnt 0                                        // wait for swizzle operation
v_accvgpr_write_b32 acc2, v5                       // 
v_accvgpr_read_b32 v5, acc3                        // glvw 3 mb 0 tt1 3 r 0
s_nop 1                                            // v_accvgpr read vgpr after write vgpr: 2 wait states
ds_bpermute_b32 v5, v0, v5, offset:20              // permute edge values
s_waitcnt 0                                        // wait for swizzle operation
v_accvgpr_write_b32 acc3, v5                       // 
v_accvgpr_read_b32 v5, acc4                        // glvw 3 mb 0 tt1 4 r 0
s_nop 1                                            // v_accvgpr read vgpr after write vgpr: 2 wait states
ds_bpermute_b32 v5, v0, v5, offset:20              // permute edge values
s_waitcnt 0                                        // wait for swizzle operation
v_accvgpr_write_b32 acc4, v5                       // 
v_accvgpr_read_b32 v5, acc5                        // glvw 3 mb 0 tt1 5 r 0
s_nop 1                                            // v_accvgpr read vgpr after write vgpr: 2 wait states
ds_bpermute_b32 v5, v0, v5, offset:20              // permute edge values
s_waitcnt 0                                        // wait for swizzle operation
v_accvgpr_write_b32 acc5, v5                       // 
v_accvgpr_read_b32 v5, acc6                        // glvw 3 mb 0 tt1 6 r 0
s_nop 1                                            // v_accvgpr read vgpr after write vgpr: 2 wait states
ds_bpermute_b32 v5, v0, v5, offset:20              // permute edge values
s_waitcnt 0                                        // wait for swizzle operation
v_accvgpr_write_b32 acc6, v5                       // 
v_accvgpr_read_b32 v5, acc7                        // glvw 3 mb 0 tt1 7 r 0
s_nop 1                                            // v_accvgpr read vgpr after write vgpr: 2 wait states
ds_bpermute_b32 v5, v0, v5, offset:20              // permute edge values
s_waitcnt 0                                        // wait for swizzle operation
v_accvgpr_write_b32 acc7, v5                       // 
v_accvgpr_read_b32 v5, acc8                        // glvw 3 mb 0 tt1 8 r 0
s_nop 1                                            // v_accvgpr read vgpr after write vgpr: 2 wait states
ds_bpermute_b32 v5, v0, v5, offset:20              // permute edge values
s_waitcnt 0                                        // wait for swizzle operation
v_accvgpr_write_b32 acc8, v5                       // 
v_accvgpr_read_b32 v5, acc9                        // glvw 3 mb 0 tt1 9 r 0
s_nop 1                                            // v_accvgpr read vgpr after write vgpr: 2 wait states
ds_bpermute_b32 v5, v0, v5, offset:20              // permute edge values
s_waitcnt 0                                        // wait for swizzle operation
v_accvgpr_write_b32 acc9, v5                       // 
v_accvgpr_read_b32 v5, acc10                       // glvw 3 mb 0 tt1 10 r 0
s_nop 1                                            // v_accvgpr read vgpr after write vgpr: 2 wait states
ds_bpermute_b32 v5, v0, v5, offset:20              // permute edge values
s_waitcnt 0                                        // wait for swizzle operation
v_accvgpr_write_b32 acc10, v5                      // 
v_accvgpr_read_b32 v5, acc11                       // glvw 3 mb 0 tt1 11 r 0
s_nop 1                                            // v_accvgpr read vgpr after write vgpr: 2 wait states
ds_bpermute_b32 v5, v0, v5, offset:20              // permute edge values
s_waitcnt 0                                        // wait for swizzle operation
v_accvgpr_write_b32 acc11, v5                      // 
v_accvgpr_read_b32 v5, acc12                       // glvw 3 mb 0 tt1 12 r 0
s_nop 1                                            // v_accvgpr read vgpr after write vgpr: 2 wait states
ds_bpermute_b32 v5, v0, v5, offset:20              // permute edge values
s_waitcnt 0                                        // wait for swizzle operation
v_accvgpr_write_b32 acc12, v5                      // 
v_accvgpr_read_b32 v5, acc13                       // glvw 3 mb 0 tt1 13 r 0
s_nop 1                                            // v_accvgpr read vgpr after write vgpr: 2 wait states
ds_bpermute_b32 v5, v0, v5, offset:20              // permute edge values
s_waitcnt 0                                        // wait for swizzle operation
v_accvgpr_write_b32 acc13, v5                      // 
v_accvgpr_read_b32 v5, acc14                       // glvw 3 mb 0 tt1 14 r 0
s_nop 1                                            // v_accvgpr read vgpr after write vgpr: 2 wait states
ds_bpermute_b32 v5, v0, v5, offset:20              // permute edge values
s_waitcnt 0                                        // wait for swizzle operation
v_accvgpr_write_b32 acc14, v5                      // 
v_accvgpr_read_b32 v5, acc15                       // glvw 3 mb 0 tt1 15 r 0
s_nop 1                                            // v_accvgpr read vgpr after write vgpr: 2 wait states
ds_bpermute_b32 v5, v0, v5, offset:20              // permute edge values
s_waitcnt 0                                        // wait for swizzle operation
v_accvgpr_write_b32 acc15, v5                      // 
v_accvgpr_read_b32 v5, acc16                       // glvw 3 mb 0 tt1 16 r 0
s_nop 1                                            // v_accvgpr read vgpr after write vgpr: 2 wait states
ds_bpermute_b32 v5, v0, v5, offset:20              // permute edge values
s_waitcnt 0                                        // wait for swizzle operation
v_accvgpr_write_b32 acc16, v5                      // 
v_accvgpr_read_b32 v5, acc17                       // glvw 3 mb 0 tt1 17 r 0
s_nop 1                                            // v_accvgpr read vgpr after write vgpr: 2 wait states
ds_bpermute_b32 v5, v0, v5, offset:20              // permute edge values
s_waitcnt 0                                        // wait for swizzle operation
v_accvgpr_write_b32 acc17, v5                      // 
v_accvgpr_read_b32 v5, acc18                       // glvw 3 mb 0 tt1 18 r 0
s_nop 1                                            // v_accvgpr read vgpr after write vgpr: 2 wait states
ds_bpermute_b32 v5, v0, v5, offset:20              // permute edge values
s_waitcnt 0                                        // wait for swizzle operation
v_accvgpr_write_b32 acc18, v5                      // 
v_accvgpr_read_b32 v5, acc19                       // glvw 3 mb 0 tt1 19 r 0
s_nop 1                                            // v_accvgpr read vgpr after write vgpr: 2 wait states
ds_bpermute_b32 v5, v0, v5, offset:20              // permute edge values
s_waitcnt 0                                        // wait for swizzle operation
v_accvgpr_write_b32 acc19, v5                      // 
v_accvgpr_read_b32 v5, acc20                       // glvw 3 mb 0 tt1 20 r 0
s_nop 1                                            // v_accvgpr read vgpr after write vgpr: 2 wait states
ds_bpermute_b32 v5, v0, v5, offset:20              // permute edge values
s_waitcnt 0                                        // wait for swizzle operation
v_accvgpr_write_b32 acc20, v5                      // 
v_accvgpr_read_b32 v5, acc21                       // glvw 3 mb 0 tt1 21 r 0
s_nop 1                                            // v_accvgpr read vgpr after write vgpr: 2 wait states
ds_bpermute_b32 v5, v0, v5, offset:20              // permute edge values
s_waitcnt 0                                        // wait for swizzle operation
v_accvgpr_write_b32 acc21, v5                      // 
v_accvgpr_read_b32 v5, acc22                       // glvw 3 mb 0 tt1 22 r 0
s_nop 1                                            // v_accvgpr read vgpr after write vgpr: 2 wait states
ds_bpermute_b32 v5, v0, v5, offset:20              // permute edge values
s_waitcnt 0                                        // wait for swizzle operation
v_accvgpr_write_b32 acc22, v5                      // 
v_accvgpr_read_b32 v5, acc23                       // glvw 3 mb 0 tt1 23 r 0
s_nop 1                                            // v_accvgpr read vgpr after write vgpr: 2 wait states
ds_bpermute_b32 v5, v0, v5, offset:20              // permute edge values
s_waitcnt 0                                        // wait for swizzle operation
v_accvgpr_write_b32 acc23, v5                      // 
v_accvgpr_read_b32 v5, acc24                       // glvw 3 mb 0 tt1 24 r 0
s_nop 1                                            // v_accvgpr read vgpr after write vgpr: 2 wait states
ds_bpermute_b32 v5, v0, v5, offset:20              // permute edge values
s_waitcnt 0                                        // wait for swizzle operation
v_accvgpr_write_b32 acc24, v5                      // 
v_accvgpr_read_b32 v5, acc25                       // glvw 3 mb 0 tt1 25 r 0
s_nop 1                                            // v_accvgpr read vgpr after write vgpr: 2 wait states
ds_bpermute_b32 v5, v0, v5, offset:20              // permute edge values
s_waitcnt 0                                        // wait for swizzle operation
v_accvgpr_write_b32 acc25, v5                      // 
v_accvgpr_read_b32 v5, acc26                       // glvw 3 mb 0 tt1 26 r 0
s_nop 1                                            // v_accvgpr read vgpr after write vgpr: 2 wait states
ds_bpermute_b32 v5, v0, v5, offset:20              // permute edge values
s_waitcnt 0                                        // wait for swizzle operation
v_accvgpr_write_b32 acc26, v5                      // 
v_accvgpr_read_b32 v5, acc27                       // glvw 3 mb 0 tt1 27 r 0
s_nop 1                                            // v_accvgpr read vgpr after write vgpr: 2 wait states
ds_bpermute_b32 v5, v0, v5, offset:20              // permute edge values
s_waitcnt 0                                        // wait for swizzle operation
v_accvgpr_write_b32 acc27, v5                      // 
v_accvgpr_read_b32 v5, acc28                       // glvw 3 mb 0 tt1 28 r 0
s_nop 1                                            // v_accvgpr read vgpr after write vgpr: 2 wait states
ds_bpermute_b32 v5, v0, v5, offset:20              // permute edge values
s_waitcnt 0                                        // wait for swizzle operation
v_accvgpr_write_b32 acc28, v5                      // 
v_accvgpr_read_b32 v5, acc29                       // glvw 3 mb 0 tt1 29 r 0
s_nop 1                                            // v_accvgpr read vgpr after write vgpr: 2 wait states
ds_bpermute_b32 v5, v0, v5, offset:20              // permute edge values
s_waitcnt 0                                        // wait for swizzle operation
v_accvgpr_write_b32 acc29, v5                      // 
v_accvgpr_read_b32 v5, acc30                       // glvw 3 mb 0 tt1 30 r 0
s_nop 1                                            // v_accvgpr read vgpr after write vgpr: 2 wait states
ds_bpermute_b32 v5, v0, v5, offset:20              // permute edge values
s_waitcnt 0                                        // wait for swizzle operation
v_accvgpr_write_b32 acc30, v5                      // 
v_accvgpr_read_b32 v5, acc31                       // glvw 3 mb 0 tt1 31 r 0
s_nop 1                                            // v_accvgpr read vgpr after write vgpr: 2 wait states
ds_bpermute_b32 v5, v0, v5, offset:20              // permute edge values
s_waitcnt 0                                        // wait for swizzle operation
v_accvgpr_write_b32 acc31, v5                      // 
s_mov_b64 s[32:33], 0xFFFFFFFFFFFFFFFF             // to restore all threads active
s_or_saveexec_b64 vcc, s[32:33]                    // all threads active
s_branch label_0148                                // done shifting


/******************************************/
/* shift d1 r=3 mb=1 vw0                  */
/******************************************/
label_0067: // r3 mb1 vw0 
s_mov_b32 s32, 4                                   // 
_v_cmpx_eq_u32 s[32:33], v4, s32                   // is thread in edge glvw region
v_and_b32 v0, 63, v[vgprSerial]                    // permute register between threads
v_lshlrev_b32 v0, 2, v0                            // permute register between threads
v_accvgpr_read_b32 v5, acc32                       // glvw 3 mb 1 tt1 0 r 0
s_nop 1                                            // v_accvgpr read vgpr after write vgpr: 2 wait states
ds_bpermute_b32 v5, v0, v5, offset:20              // permute edge values
s_waitcnt 0                                        // wait for swizzle operation
v_accvgpr_write_b32 acc32, v5                      // 
v_accvgpr_read_b32 v5, acc33                       // glvw 3 mb 1 tt1 1 r 0
s_nop 1                                            // v_accvgpr read vgpr after write vgpr: 2 wait states
ds_bpermute_b32 v5, v0, v5, offset:20              // permute edge values
s_waitcnt 0                                        // wait for swizzle operation
v_accvgpr_write_b32 acc33, v5                      // 
v_accvgpr_read_b32 v5, acc34                       // glvw 3 mb 1 tt1 2 r 0
s_nop 1                                            // v_accvgpr read vgpr after write vgpr: 2 wait states
ds_bpermute_b32 v5, v0, v5, offset:20              // permute edge values
s_waitcnt 0                                        // wait for swizzle operation
v_accvgpr_write_b32 acc34, v5                      // 
v_accvgpr_read_b32 v5, acc35                       // glvw 3 mb 1 tt1 3 r 0
s_nop 1                                            // v_accvgpr read vgpr after write vgpr: 2 wait states
ds_bpermute_b32 v5, v0, v5, offset:20              // permute edge values
s_waitcnt 0                                        // wait for swizzle operation
v_accvgpr_write_b32 acc35, v5                      // 
v_accvgpr_read_b32 v5, acc36                       // glvw 3 mb 1 tt1 4 r 0
s_nop 1                                            // v_accvgpr read vgpr after write vgpr: 2 wait states
ds_bpermute_b32 v5, v0, v5, offset:20              // permute edge values
s_waitcnt 0                                        // wait for swizzle operation
v_accvgpr_write_b32 acc36, v5                      // 
v_accvgpr_read_b32 v5, acc37                       // glvw 3 mb 1 tt1 5 r 0
s_nop 1                                            // v_accvgpr read vgpr after write vgpr: 2 wait states
ds_bpermute_b32 v5, v0, v5, offset:20              // permute edge values
s_waitcnt 0                                        // wait for swizzle operation
v_accvgpr_write_b32 acc37, v5                      // 
v_accvgpr_read_b32 v5, acc38                       // glvw 3 mb 1 tt1 6 r 0
s_nop 1                                            // v_accvgpr read vgpr after write vgpr: 2 wait states
ds_bpermute_b32 v5, v0, v5, offset:20              // permute edge values
s_waitcnt 0                                        // wait for swizzle operation
v_accvgpr_write_b32 acc38, v5                      // 
v_accvgpr_read_b32 v5, acc39                       // glvw 3 mb 1 tt1 7 r 0
s_nop 1                                            // v_accvgpr read vgpr after write vgpr: 2 wait states
ds_bpermute_b32 v5, v0, v5, offset:20              // permute edge values
s_waitcnt 0                                        // wait for swizzle operation
v_accvgpr_write_b32 acc39, v5                      // 
v_accvgpr_read_b32 v5, acc40                       // glvw 3 mb 1 tt1 8 r 0
s_nop 1                                            // v_accvgpr read vgpr after write vgpr: 2 wait states
ds_bpermute_b32 v5, v0, v5, offset:20              // permute edge values
s_waitcnt 0                                        // wait for swizzle operation
v_accvgpr_write_b32 acc40, v5                      // 
v_accvgpr_read_b32 v5, acc41                       // glvw 3 mb 1 tt1 9 r 0
s_nop 1                                            // v_accvgpr read vgpr after write vgpr: 2 wait states
ds_bpermute_b32 v5, v0, v5, offset:20              // permute edge values
s_waitcnt 0                                        // wait for swizzle operation
v_accvgpr_write_b32 acc41, v5                      // 
v_accvgpr_read_b32 v5, acc42                       // glvw 3 mb 1 tt1 10 r 0
s_nop 1                                            // v_accvgpr read vgpr after write vgpr: 2 wait states
ds_bpermute_b32 v5, v0, v5, offset:20              // permute edge values
s_waitcnt 0                                        // wait for swizzle operation
v_accvgpr_write_b32 acc42, v5                      // 
v_accvgpr_read_b32 v5, acc43                       // glvw 3 mb 1 tt1 11 r 0
s_nop 1                                            // v_accvgpr read vgpr after write vgpr: 2 wait states
ds_bpermute_b32 v5, v0, v5, offset:20              // permute edge values
s_waitcnt 0                                        // wait for swizzle operation
v_accvgpr_write_b32 acc43, v5                      // 
v_accvgpr_read_b32 v5, acc44                       // glvw 3 mb 1 tt1 12 r 0
s_nop 1                                            // v_accvgpr read vgpr after write vgpr: 2 wait states
ds_bpermute_b32 v5, v0, v5, offset:20              // permute edge values
s_waitcnt 0                                        // wait for swizzle operation
v_accvgpr_write_b32 acc44, v5                      // 
v_accvgpr_read_b32 v5, acc45                       // glvw 3 mb 1 tt1 13 r 0
s_nop 1                                            // v_accvgpr read vgpr after write vgpr: 2 wait states
ds_bpermute_b32 v5, v0, v5, offset:20              // permute edge values
s_waitcnt 0                                        // wait for swizzle operation
v_accvgpr_write_b32 acc45, v5                      // 
v_accvgpr_read_b32 v5, acc46                       // glvw 3 mb 1 tt1 14 r 0
s_nop 1                                            // v_accvgpr read vgpr after write vgpr: 2 wait states
ds_bpermute_b32 v5, v0, v5, offset:20              // permute edge values
s_waitcnt 0                                        // wait for swizzle operation
v_accvgpr_write_b32 acc46, v5                      // 
v_accvgpr_read_b32 v5, acc47                       // glvw 3 mb 1 tt1 15 r 0
s_nop 1                                            // v_accvgpr read vgpr after write vgpr: 2 wait states
ds_bpermute_b32 v5, v0, v5, offset:20              // permute edge values
s_waitcnt 0                                        // wait for swizzle operation
v_accvgpr_write_b32 acc47, v5                      // 
v_accvgpr_read_b32 v5, acc48                       // glvw 3 mb 1 tt1 16 r 0
s_nop 1                                            // v_accvgpr read vgpr after write vgpr: 2 wait states
ds_bpermute_b32 v5, v0, v5, offset:20              // permute edge values
s_waitcnt 0                                        // wait for swizzle operation
v_accvgpr_write_b32 acc48, v5                      // 
v_accvgpr_read_b32 v5, acc49                       // glvw 3 mb 1 tt1 17 r 0
s_nop 1                                            // v_accvgpr read vgpr after write vgpr: 2 wait states
ds_bpermute_b32 v5, v0, v5, offset:20              // permute edge values
s_waitcnt 0                                        // wait for swizzle operation
v_accvgpr_write_b32 acc49, v5                      // 
v_accvgpr_read_b32 v5, acc50                       // glvw 3 mb 1 tt1 18 r 0
s_nop 1                                            // v_accvgpr read vgpr after write vgpr: 2 wait states
ds_bpermute_b32 v5, v0, v5, offset:20              // permute edge values
s_waitcnt 0                                        // wait for swizzle operation
v_accvgpr_write_b32 acc50, v5                      // 
v_accvgpr_read_b32 v5, acc51                       // glvw 3 mb 1 tt1 19 r 0
s_nop 1                                            // v_accvgpr read vgpr after write vgpr: 2 wait states
ds_bpermute_b32 v5, v0, v5, offset:20              // permute edge values
s_waitcnt 0                                        // wait for swizzle operation
v_accvgpr_write_b32 acc51, v5                      // 
v_accvgpr_read_b32 v5, acc52                       // glvw 3 mb 1 tt1 20 r 0
s_nop 1                                            // v_accvgpr read vgpr after write vgpr: 2 wait states
ds_bpermute_b32 v5, v0, v5, offset:20              // permute edge values
s_waitcnt 0                                        // wait for swizzle operation
v_accvgpr_write_b32 acc52, v5                      // 
v_accvgpr_read_b32 v5, acc53                       // glvw 3 mb 1 tt1 21 r 0
s_nop 1                                            // v_accvgpr read vgpr after write vgpr: 2 wait states
ds_bpermute_b32 v5, v0, v5, offset:20              // permute edge values
s_waitcnt 0                                        // wait for swizzle operation
v_accvgpr_write_b32 acc53, v5                      // 
v_accvgpr_read_b32 v5, acc54                       // glvw 3 mb 1 tt1 22 r 0
s_nop 1                                            // v_accvgpr read vgpr after write vgpr: 2 wait states
ds_bpermute_b32 v5, v0, v5, offset:20              // permute edge values
s_waitcnt 0                                        // wait for swizzle operation
v_accvgpr_write_b32 acc54, v5                      // 
v_accvgpr_read_b32 v5, acc55                       // glvw 3 mb 1 tt1 23 r 0
s_nop 1                                            // v_accvgpr read vgpr after write vgpr: 2 wait states
ds_bpermute_b32 v5, v0, v5, offset:20              // permute edge values
s_waitcnt 0                                        // wait for swizzle operation
v_accvgpr_write_b32 acc55, v5                      // 
v_accvgpr_read_b32 v5, acc56                       // glvw 3 mb 1 tt1 24 r 0
s_nop 1                                            // v_accvgpr read vgpr after write vgpr: 2 wait states
ds_bpermute_b32 v5, v0, v5, offset:20              // permute edge values
s_waitcnt 0                                        // wait for swizzle operation
v_accvgpr_write_b32 acc56, v5                      // 
v_accvgpr_read_b32 v5, acc57                       // glvw 3 mb 1 tt1 25 r 0
s_nop 1                                            // v_accvgpr read vgpr after write vgpr: 2 wait states
ds_bpermute_b32 v5, v0, v5, offset:20              // permute edge values
s_waitcnt 0                                        // wait for swizzle operation
v_accvgpr_write_b32 acc57, v5                      // 
v_accvgpr_read_b32 v5, acc58                       // glvw 3 mb 1 tt1 26 r 0
s_nop 1                                            // v_accvgpr read vgpr after write vgpr: 2 wait states
ds_bpermute_b32 v5, v0, v5, offset:20              // permute edge values
s_waitcnt 0                                        // wait for swizzle operation
v_accvgpr_write_b32 acc58, v5                      // 
v_accvgpr_read_b32 v5, acc59                       // glvw 3 mb 1 tt1 27 r 0
s_nop 1                                            // v_accvgpr read vgpr after write vgpr: 2 wait states
ds_bpermute_b32 v5, v0, v5, offset:20              // permute edge values
s_waitcnt 0                                        // wait for swizzle operation
v_accvgpr_write_b32 acc59, v5                      // 
v_accvgpr_read_b32 v5, acc60                       // glvw 3 mb 1 tt1 28 r 0
s_nop 1                                            // v_accvgpr read vgpr after write vgpr: 2 wait states
ds_bpermute_b32 v5, v0, v5, offset:20              // permute edge values
s_waitcnt 0                                        // wait for swizzle operation
v_accvgpr_write_b32 acc60, v5                      // 
v_accvgpr_read_b32 v5, acc61                       // glvw 3 mb 1 tt1 29 r 0
s_nop 1                                            // v_accvgpr read vgpr after write vgpr: 2 wait states
ds_bpermute_b32 v5, v0, v5, offset:20              // permute edge values
s_waitcnt 0                                        // wait for swizzle operation
v_accvgpr_write_b32 acc61, v5                      // 
v_accvgpr_read_b32 v5, acc62                       // glvw 3 mb 1 tt1 30 r 0
s_nop 1                                            // v_accvgpr read vgpr after write vgpr: 2 wait states
ds_bpermute_b32 v5, v0, v5, offset:20              // permute edge values
s_waitcnt 0                                        // wait for swizzle operation
v_accvgpr_write_b32 acc62, v5                      // 
v_accvgpr_read_b32 v5, acc63                       // glvw 3 mb 1 tt1 31 r 0
s_nop 1                                            // v_accvgpr read vgpr after write vgpr: 2 wait states
ds_bpermute_b32 v5, v0, v5, offset:20              // permute edge values
s_waitcnt 0                                        // wait for swizzle operation
v_accvgpr_write_b32 acc63, v5                      // 
s_mov_b64 s[32:33], 0xFFFFFFFFFFFFFFFF             // to restore all threads active
s_or_saveexec_b64 vcc, s[32:33]                    // all threads active
s_branch label_0148                                // done shifting


/******************************************/
/* shift d1 r=3 mb=2 vw0                  */
/******************************************/
label_0069: // r3 mb2 vw0 
s_mov_b32 s32, 8                                   // 
_v_cmpx_eq_u32 s[32:33], v4, s32                   // is thread in edge glvw region
v_and_b32 v0, 63, v[vgprSerial]                    // permute register between threads
v_lshlrev_b32 v0, 2, v0                            // permute register between threads
v_accvgpr_read_b32 v5, acc64                       // glvw 3 mb 2 tt1 0 r 0
s_nop 1                                            // v_accvgpr read vgpr after write vgpr: 2 wait states
ds_bpermute_b32 v5, v0, v5, offset:20              // permute edge values
s_waitcnt 0                                        // wait for swizzle operation
v_accvgpr_write_b32 acc64, v5                      // 
v_accvgpr_read_b32 v5, acc65                       // glvw 3 mb 2 tt1 1 r 0
s_nop 1                                            // v_accvgpr read vgpr after write vgpr: 2 wait states
ds_bpermute_b32 v5, v0, v5, offset:20              // permute edge values
s_waitcnt 0                                        // wait for swizzle operation
v_accvgpr_write_b32 acc65, v5                      // 
v_accvgpr_read_b32 v5, acc66                       // glvw 3 mb 2 tt1 2 r 0
s_nop 1                                            // v_accvgpr read vgpr after write vgpr: 2 wait states
ds_bpermute_b32 v5, v0, v5, offset:20              // permute edge values
s_waitcnt 0                                        // wait for swizzle operation
v_accvgpr_write_b32 acc66, v5                      // 
v_accvgpr_read_b32 v5, acc67                       // glvw 3 mb 2 tt1 3 r 0
s_nop 1                                            // v_accvgpr read vgpr after write vgpr: 2 wait states
ds_bpermute_b32 v5, v0, v5, offset:20              // permute edge values
s_waitcnt 0                                        // wait for swizzle operation
v_accvgpr_write_b32 acc67, v5                      // 
v_accvgpr_read_b32 v5, acc68                       // glvw 3 mb 2 tt1 4 r 0
s_nop 1                                            // v_accvgpr read vgpr after write vgpr: 2 wait states
ds_bpermute_b32 v5, v0, v5, offset:20              // permute edge values
s_waitcnt 0                                        // wait for swizzle operation
v_accvgpr_write_b32 acc68, v5                      // 
v_accvgpr_read_b32 v5, acc69                       // glvw 3 mb 2 tt1 5 r 0
s_nop 1                                            // v_accvgpr read vgpr after write vgpr: 2 wait states
ds_bpermute_b32 v5, v0, v5, offset:20              // permute edge values
s_waitcnt 0                                        // wait for swizzle operation
v_accvgpr_write_b32 acc69, v5                      // 
v_accvgpr_read_b32 v5, acc70                       // glvw 3 mb 2 tt1 6 r 0
s_nop 1                                            // v_accvgpr read vgpr after write vgpr: 2 wait states
ds_bpermute_b32 v5, v0, v5, offset:20              // permute edge values
s_waitcnt 0                                        // wait for swizzle operation
v_accvgpr_write_b32 acc70, v5                      // 
v_accvgpr_read_b32 v5, acc71                       // glvw 3 mb 2 tt1 7 r 0
s_nop 1                                            // v_accvgpr read vgpr after write vgpr: 2 wait states
ds_bpermute_b32 v5, v0, v5, offset:20              // permute edge values
s_waitcnt 0                                        // wait for swizzle operation
v_accvgpr_write_b32 acc71, v5                      // 
v_accvgpr_read_b32 v5, acc72                       // glvw 3 mb 2 tt1 8 r 0
s_nop 1                                            // v_accvgpr read vgpr after write vgpr: 2 wait states
ds_bpermute_b32 v5, v0, v5, offset:20              // permute edge values
s_waitcnt 0                                        // wait for swizzle operation
v_accvgpr_write_b32 acc72, v5                      // 
v_accvgpr_read_b32 v5, acc73                       // glvw 3 mb 2 tt1 9 r 0
s_nop 1                                            // v_accvgpr read vgpr after write vgpr: 2 wait states
ds_bpermute_b32 v5, v0, v5, offset:20              // permute edge values
s_waitcnt 0                                        // wait for swizzle operation
v_accvgpr_write_b32 acc73, v5                      // 
v_accvgpr_read_b32 v5, acc74                       // glvw 3 mb 2 tt1 10 r 0
s_nop 1                                            // v_accvgpr read vgpr after write vgpr: 2 wait states
ds_bpermute_b32 v5, v0, v5, offset:20              // permute edge values
s_waitcnt 0                                        // wait for swizzle operation
v_accvgpr_write_b32 acc74, v5                      // 
v_accvgpr_read_b32 v5, acc75                       // glvw 3 mb 2 tt1 11 r 0
s_nop 1                                            // v_accvgpr read vgpr after write vgpr: 2 wait states
ds_bpermute_b32 v5, v0, v5, offset:20              // permute edge values
s_waitcnt 0                                        // wait for swizzle operation
v_accvgpr_write_b32 acc75, v5                      // 
v_accvgpr_read_b32 v5, acc76                       // glvw 3 mb 2 tt1 12 r 0
s_nop 1                                            // v_accvgpr read vgpr after write vgpr: 2 wait states
ds_bpermute_b32 v5, v0, v5, offset:20              // permute edge values
s_waitcnt 0                                        // wait for swizzle operation
v_accvgpr_write_b32 acc76, v5                      // 
v_accvgpr_read_b32 v5, acc77                       // glvw 3 mb 2 tt1 13 r 0
s_nop 1                                            // v_accvgpr read vgpr after write vgpr: 2 wait states
ds_bpermute_b32 v5, v0, v5, offset:20              // permute edge values
s_waitcnt 0                                        // wait for swizzle operation
v_accvgpr_write_b32 acc77, v5                      // 
v_accvgpr_read_b32 v5, acc78                       // glvw 3 mb 2 tt1 14 r 0
s_nop 1                                            // v_accvgpr read vgpr after write vgpr: 2 wait states
ds_bpermute_b32 v5, v0, v5, offset:20              // permute edge values
s_waitcnt 0                                        // wait for swizzle operation
v_accvgpr_write_b32 acc78, v5                      // 
v_accvgpr_read_b32 v5, acc79                       // glvw 3 mb 2 tt1 15 r 0
s_nop 1                                            // v_accvgpr read vgpr after write vgpr: 2 wait states
ds_bpermute_b32 v5, v0, v5, offset:20              // permute edge values
s_waitcnt 0                                        // wait for swizzle operation
v_accvgpr_write_b32 acc79, v5                      // 
v_accvgpr_read_b32 v5, acc80                       // glvw 3 mb 2 tt1 16 r 0
s_nop 1                                            // v_accvgpr read vgpr after write vgpr: 2 wait states
ds_bpermute_b32 v5, v0, v5, offset:20              // permute edge values
s_waitcnt 0                                        // wait for swizzle operation
v_accvgpr_write_b32 acc80, v5                      // 
v_accvgpr_read_b32 v5, acc81                       // glvw 3 mb 2 tt1 17 r 0
s_nop 1                                            // v_accvgpr read vgpr after write vgpr: 2 wait states
ds_bpermute_b32 v5, v0, v5, offset:20              // permute edge values
s_waitcnt 0                                        // wait for swizzle operation
v_accvgpr_write_b32 acc81, v5                      // 
v_accvgpr_read_b32 v5, acc82                       // glvw 3 mb 2 tt1 18 r 0
s_nop 1                                            // v_accvgpr read vgpr after write vgpr: 2 wait states
ds_bpermute_b32 v5, v0, v5, offset:20              // permute edge values
s_waitcnt 0                                        // wait for swizzle operation
v_accvgpr_write_b32 acc82, v5                      // 
v_accvgpr_read_b32 v5, acc83                       // glvw 3 mb 2 tt1 19 r 0
s_nop 1                                            // v_accvgpr read vgpr after write vgpr: 2 wait states
ds_bpermute_b32 v5, v0, v5, offset:20              // permute edge values
s_waitcnt 0                                        // wait for swizzle operation
v_accvgpr_write_b32 acc83, v5                      // 
v_accvgpr_read_b32 v5, acc84                       // glvw 3 mb 2 tt1 20 r 0
s_nop 1                                            // v_accvgpr read vgpr after write vgpr: 2 wait states
ds_bpermute_b32 v5, v0, v5, offset:20              // permute edge values
s_waitcnt 0                                        // wait for swizzle operation
v_accvgpr_write_b32 acc84, v5                      // 
v_accvgpr_read_b32 v5, acc85                       // glvw 3 mb 2 tt1 21 r 0
s_nop 1                                            // v_accvgpr read vgpr after write vgpr: 2 wait states
ds_bpermute_b32 v5, v0, v5, offset:20              // permute edge values
s_waitcnt 0                                        // wait for swizzle operation
v_accvgpr_write_b32 acc85, v5                      // 
v_accvgpr_read_b32 v5, acc86                       // glvw 3 mb 2 tt1 22 r 0
s_nop 1                                            // v_accvgpr read vgpr after write vgpr: 2 wait states
ds_bpermute_b32 v5, v0, v5, offset:20              // permute edge values
s_waitcnt 0                                        // wait for swizzle operation
v_accvgpr_write_b32 acc86, v5                      // 
v_accvgpr_read_b32 v5, acc87                       // glvw 3 mb 2 tt1 23 r 0
s_nop 1                                            // v_accvgpr read vgpr after write vgpr: 2 wait states
ds_bpermute_b32 v5, v0, v5, offset:20              // permute edge values
s_waitcnt 0                                        // wait for swizzle operation
v_accvgpr_write_b32 acc87, v5                      // 
v_accvgpr_read_b32 v5, acc88                       // glvw 3 mb 2 tt1 24 r 0
s_nop 1                                            // v_accvgpr read vgpr after write vgpr: 2 wait states
ds_bpermute_b32 v5, v0, v5, offset:20              // permute edge values
s_waitcnt 0                                        // wait for swizzle operation
v_accvgpr_write_b32 acc88, v5                      // 
v_accvgpr_read_b32 v5, acc89                       // glvw 3 mb 2 tt1 25 r 0
s_nop 1                                            // v_accvgpr read vgpr after write vgpr: 2 wait states
ds_bpermute_b32 v5, v0, v5, offset:20              // permute edge values
s_waitcnt 0                                        // wait for swizzle operation
v_accvgpr_write_b32 acc89, v5                      // 
v_accvgpr_read_b32 v5, acc90                       // glvw 3 mb 2 tt1 26 r 0
s_nop 1                                            // v_accvgpr read vgpr after write vgpr: 2 wait states
ds_bpermute_b32 v5, v0, v5, offset:20              // permute edge values
s_waitcnt 0                                        // wait for swizzle operation
v_accvgpr_write_b32 acc90, v5                      // 
v_accvgpr_read_b32 v5, acc91                       // glvw 3 mb 2 tt1 27 r 0
s_nop 1                                            // v_accvgpr read vgpr after write vgpr: 2 wait states
ds_bpermute_b32 v5, v0, v5, offset:20              // permute edge values
s_waitcnt 0                                        // wait for swizzle operation
v_accvgpr_write_b32 acc91, v5                      // 
v_accvgpr_read_b32 v5, acc92                       // glvw 3 mb 2 tt1 28 r 0
s_nop 1                                            // v_accvgpr read vgpr after write vgpr: 2 wait states
ds_bpermute_b32 v5, v0, v5, offset:20              // permute edge values
s_waitcnt 0                                        // wait for swizzle operation
v_accvgpr_write_b32 acc92, v5                      // 
v_accvgpr_read_b32 v5, acc93                       // glvw 3 mb 2 tt1 29 r 0
s_nop 1                                            // v_accvgpr read vgpr after write vgpr: 2 wait states
ds_bpermute_b32 v5, v0, v5, offset:20              // permute edge values
s_waitcnt 0                                        // wait for swizzle operation
v_accvgpr_write_b32 acc93, v5                      // 
v_accvgpr_read_b32 v5, acc94                       // glvw 3 mb 2 tt1 30 r 0
s_nop 1                                            // v_accvgpr read vgpr after write vgpr: 2 wait states
ds_bpermute_b32 v5, v0, v5, offset:20              // permute edge values
s_waitcnt 0                                        // wait for swizzle operation
v_accvgpr_write_b32 acc94, v5                      // 
v_accvgpr_read_b32 v5, acc95                       // glvw 3 mb 2 tt1 31 r 0
s_nop 1                                            // v_accvgpr read vgpr after write vgpr: 2 wait states
ds_bpermute_b32 v5, v0, v5, offset:20              // permute edge values
s_waitcnt 0                                        // wait for swizzle operation
v_accvgpr_write_b32 acc95, v5                      // 
s_mov_b64 s[32:33], 0xFFFFFFFFFFFFFFFF             // to restore all threads active
s_or_saveexec_b64 vcc, s[32:33]                    // all threads active
s_branch label_0148                                // done shifting


/******************************************/
/* shift d1 r=3 mb=3 vw0                  */
/******************************************/
label_0071: // r3 mb3 vw0 
s_mov_b32 s32, 12                                  // 
_v_cmpx_eq_u32 s[32:33], v4, s32                   // is thread in edge glvw region
v_and_b32 v0, 63, v[vgprSerial]                    // permute register between threads
v_lshlrev_b32 v0, 2, v0                            // permute register between threads
v_accvgpr_read_b32 v5, acc96                       // glvw 3 mb 3 tt1 0 r 0
s_nop 1                                            // v_accvgpr read vgpr after write vgpr: 2 wait states
ds_bpermute_b32 v5, v0, v5, offset:20              // permute edge values
s_waitcnt 0                                        // wait for swizzle operation
v_accvgpr_write_b32 acc96, v5                      // 
v_accvgpr_read_b32 v5, acc97                       // glvw 3 mb 3 tt1 1 r 0
s_nop 1                                            // v_accvgpr read vgpr after write vgpr: 2 wait states
ds_bpermute_b32 v5, v0, v5, offset:20              // permute edge values
s_waitcnt 0                                        // wait for swizzle operation
v_accvgpr_write_b32 acc97, v5                      // 
v_accvgpr_read_b32 v5, acc98                       // glvw 3 mb 3 tt1 2 r 0
s_nop 1                                            // v_accvgpr read vgpr after write vgpr: 2 wait states
ds_bpermute_b32 v5, v0, v5, offset:20              // permute edge values
s_waitcnt 0                                        // wait for swizzle operation
v_accvgpr_write_b32 acc98, v5                      // 
v_accvgpr_read_b32 v5, acc99                       // glvw 3 mb 3 tt1 3 r 0
s_nop 1                                            // v_accvgpr read vgpr after write vgpr: 2 wait states
ds_bpermute_b32 v5, v0, v5, offset:20              // permute edge values
s_waitcnt 0                                        // wait for swizzle operation
v_accvgpr_write_b32 acc99, v5                      // 
v_accvgpr_read_b32 v5, acc100                      // glvw 3 mb 3 tt1 4 r 0
s_nop 1                                            // v_accvgpr read vgpr after write vgpr: 2 wait states
ds_bpermute_b32 v5, v0, v5, offset:20              // permute edge values
s_waitcnt 0                                        // wait for swizzle operation
v_accvgpr_write_b32 acc100, v5                     // 
v_accvgpr_read_b32 v5, acc101                      // glvw 3 mb 3 tt1 5 r 0
s_nop 1                                            // v_accvgpr read vgpr after write vgpr: 2 wait states
ds_bpermute_b32 v5, v0, v5, offset:20              // permute edge values
s_waitcnt 0                                        // wait for swizzle operation
v_accvgpr_write_b32 acc101, v5                     // 
v_accvgpr_read_b32 v5, acc102                      // glvw 3 mb 3 tt1 6 r 0
s_nop 1                                            // v_accvgpr read vgpr after write vgpr: 2 wait states
ds_bpermute_b32 v5, v0, v5, offset:20              // permute edge values
s_waitcnt 0                                        // wait for swizzle operation
v_accvgpr_write_b32 acc102, v5                     // 
v_accvgpr_read_b32 v5, acc103                      // glvw 3 mb 3 tt1 7 r 0
s_nop 1                                            // v_accvgpr read vgpr after write vgpr: 2 wait states
ds_bpermute_b32 v5, v0, v5, offset:20              // permute edge values
s_waitcnt 0                                        // wait for swizzle operation
v_accvgpr_write_b32 acc103, v5                     // 
v_accvgpr_read_b32 v5, acc104                      // glvw 3 mb 3 tt1 8 r 0
s_nop 1                                            // v_accvgpr read vgpr after write vgpr: 2 wait states
ds_bpermute_b32 v5, v0, v5, offset:20              // permute edge values
s_waitcnt 0                                        // wait for swizzle operation
v_accvgpr_write_b32 acc104, v5                     // 
v_accvgpr_read_b32 v5, acc105                      // glvw 3 mb 3 tt1 9 r 0
s_nop 1                                            // v_accvgpr read vgpr after write vgpr: 2 wait states
ds_bpermute_b32 v5, v0, v5, offset:20              // permute edge values
s_waitcnt 0                                        // wait for swizzle operation
v_accvgpr_write_b32 acc105, v5                     // 
v_accvgpr_read_b32 v5, acc106                      // glvw 3 mb 3 tt1 10 r 0
s_nop 1                                            // v_accvgpr read vgpr after write vgpr: 2 wait states
ds_bpermute_b32 v5, v0, v5, offset:20              // permute edge values
s_waitcnt 0                                        // wait for swizzle operation
v_accvgpr_write_b32 acc106, v5                     // 
v_accvgpr_read_b32 v5, acc107                      // glvw 3 mb 3 tt1 11 r 0
s_nop 1                                            // v_accvgpr read vgpr after write vgpr: 2 wait states
ds_bpermute_b32 v5, v0, v5, offset:20              // permute edge values
s_waitcnt 0                                        // wait for swizzle operation
v_accvgpr_write_b32 acc107, v5                     // 
v_accvgpr_read_b32 v5, acc108                      // glvw 3 mb 3 tt1 12 r 0
s_nop 1                                            // v_accvgpr read vgpr after write vgpr: 2 wait states
ds_bpermute_b32 v5, v0, v5, offset:20              // permute edge values
s_waitcnt 0                                        // wait for swizzle operation
v_accvgpr_write_b32 acc108, v5                     // 
v_accvgpr_read_b32 v5, acc109                      // glvw 3 mb 3 tt1 13 r 0
s_nop 1                                            // v_accvgpr read vgpr after write vgpr: 2 wait states
ds_bpermute_b32 v5, v0, v5, offset:20              // permute edge values
s_waitcnt 0                                        // wait for swizzle operation
v_accvgpr_write_b32 acc109, v5                     // 
v_accvgpr_read_b32 v5, acc110                      // glvw 3 mb 3 tt1 14 r 0
s_nop 1                                            // v_accvgpr read vgpr after write vgpr: 2 wait states
ds_bpermute_b32 v5, v0, v5, offset:20              // permute edge values
s_waitcnt 0                                        // wait for swizzle operation
v_accvgpr_write_b32 acc110, v5                     // 
v_accvgpr_read_b32 v5, acc111                      // glvw 3 mb 3 tt1 15 r 0
s_nop 1                                            // v_accvgpr read vgpr after write vgpr: 2 wait states
ds_bpermute_b32 v5, v0, v5, offset:20              // permute edge values
s_waitcnt 0                                        // wait for swizzle operation
v_accvgpr_write_b32 acc111, v5                     // 
v_accvgpr_read_b32 v5, acc112                      // glvw 3 mb 3 tt1 16 r 0
s_nop 1                                            // v_accvgpr read vgpr after write vgpr: 2 wait states
ds_bpermute_b32 v5, v0, v5, offset:20              // permute edge values
s_waitcnt 0                                        // wait for swizzle operation
v_accvgpr_write_b32 acc112, v5                     // 
v_accvgpr_read_b32 v5, acc113                      // glvw 3 mb 3 tt1 17 r 0
s_nop 1                                            // v_accvgpr read vgpr after write vgpr: 2 wait states
ds_bpermute_b32 v5, v0, v5, offset:20              // permute edge values
s_waitcnt 0                                        // wait for swizzle operation
v_accvgpr_write_b32 acc113, v5                     // 
v_accvgpr_read_b32 v5, acc114                      // glvw 3 mb 3 tt1 18 r 0
s_nop 1                                            // v_accvgpr read vgpr after write vgpr: 2 wait states
ds_bpermute_b32 v5, v0, v5, offset:20              // permute edge values
s_waitcnt 0                                        // wait for swizzle operation
v_accvgpr_write_b32 acc114, v5                     // 
v_accvgpr_read_b32 v5, acc115                      // glvw 3 mb 3 tt1 19 r 0
s_nop 1                                            // v_accvgpr read vgpr after write vgpr: 2 wait states
ds_bpermute_b32 v5, v0, v5, offset:20              // permute edge values
s_waitcnt 0                                        // wait for swizzle operation
v_accvgpr_write_b32 acc115, v5                     // 
v_accvgpr_read_b32 v5, acc116                      // glvw 3 mb 3 tt1 20 r 0
s_nop 1                                            // v_accvgpr read vgpr after write vgpr: 2 wait states
ds_bpermute_b32 v5, v0, v5, offset:20              // permute edge values
s_waitcnt 0                                        // wait for swizzle operation
v_accvgpr_write_b32 acc116, v5                     // 
v_accvgpr_read_b32 v5, acc117                      // glvw 3 mb 3 tt1 21 r 0
s_nop 1                                            // v_accvgpr read vgpr after write vgpr: 2 wait states
ds_bpermute_b32 v5, v0, v5, offset:20              // permute edge values
s_waitcnt 0                                        // wait for swizzle operation
v_accvgpr_write_b32 acc117, v5                     // 
v_accvgpr_read_b32 v5, acc118                      // glvw 3 mb 3 tt1 22 r 0
s_nop 1                                            // v_accvgpr read vgpr after write vgpr: 2 wait states
ds_bpermute_b32 v5, v0, v5, offset:20              // permute edge values
s_waitcnt 0                                        // wait for swizzle operation
v_accvgpr_write_b32 acc118, v5                     // 
v_accvgpr_read_b32 v5, acc119                      // glvw 3 mb 3 tt1 23 r 0
s_nop 1                                            // v_accvgpr read vgpr after write vgpr: 2 wait states
ds_bpermute_b32 v5, v0, v5, offset:20              // permute edge values
s_waitcnt 0                                        // wait for swizzle operation
v_accvgpr_write_b32 acc119, v5                     // 
v_accvgpr_read_b32 v5, acc120                      // glvw 3 mb 3 tt1 24 r 0
s_nop 1                                            // v_accvgpr read vgpr after write vgpr: 2 wait states
ds_bpermute_b32 v5, v0, v5, offset:20              // permute edge values
s_waitcnt 0                                        // wait for swizzle operation
v_accvgpr_write_b32 acc120, v5                     // 
v_accvgpr_read_b32 v5, acc121                      // glvw 3 mb 3 tt1 25 r 0
s_nop 1                                            // v_accvgpr read vgpr after write vgpr: 2 wait states
ds_bpermute_b32 v5, v0, v5, offset:20              // permute edge values
s_waitcnt 0                                        // wait for swizzle operation
v_accvgpr_write_b32 acc121, v5                     // 
v_accvgpr_read_b32 v5, acc122                      // glvw 3 mb 3 tt1 26 r 0
s_nop 1                                            // v_accvgpr read vgpr after write vgpr: 2 wait states
ds_bpermute_b32 v5, v0, v5, offset:20              // permute edge values
s_waitcnt 0                                        // wait for swizzle operation
v_accvgpr_write_b32 acc122, v5                     // 
v_accvgpr_read_b32 v5, acc123                      // glvw 3 mb 3 tt1 27 r 0
s_nop 1                                            // v_accvgpr read vgpr after write vgpr: 2 wait states
ds_bpermute_b32 v5, v0, v5, offset:20              // permute edge values
s_waitcnt 0                                        // wait for swizzle operation
v_accvgpr_write_b32 acc123, v5                     // 
v_accvgpr_read_b32 v5, acc124                      // glvw 3 mb 3 tt1 28 r 0
s_nop 1                                            // v_accvgpr read vgpr after write vgpr: 2 wait states
ds_bpermute_b32 v5, v0, v5, offset:20              // permute edge values
s_waitcnt 0                                        // wait for swizzle operation
v_accvgpr_write_b32 acc124, v5                     // 
v_accvgpr_read_b32 v5, acc125                      // glvw 3 mb 3 tt1 29 r 0
s_nop 1                                            // v_accvgpr read vgpr after write vgpr: 2 wait states
ds_bpermute_b32 v5, v0, v5, offset:20              // permute edge values
s_waitcnt 0                                        // wait for swizzle operation
v_accvgpr_write_b32 acc125, v5                     // 
v_accvgpr_read_b32 v5, acc126                      // glvw 3 mb 3 tt1 30 r 0
s_nop 1                                            // v_accvgpr read vgpr after write vgpr: 2 wait states
ds_bpermute_b32 v5, v0, v5, offset:20              // permute edge values
s_waitcnt 0                                        // wait for swizzle operation
v_accvgpr_write_b32 acc126, v5                     // 
v_accvgpr_read_b32 v5, acc127                      // glvw 3 mb 3 tt1 31 r 0
s_nop 1                                            // v_accvgpr read vgpr after write vgpr: 2 wait states
ds_bpermute_b32 v5, v0, v5, offset:20              // permute edge values
s_waitcnt 0                                        // wait for swizzle operation
v_accvgpr_write_b32 acc127, v5                     // 
s_mov_b64 s[32:33], 0xFFFFFFFFFFFFFFFF             // to restore all threads active
s_or_saveexec_b64 vcc, s[32:33]                    // all threads active
s_branch label_0148                                // done shifting


/******************************************/
/* shift d1 r=3 mb=4 vw0                  */
/******************************************/
label_0073: // r3 mb4 vw0 
s_mov_b32 s32, 16                                  // 
_v_cmpx_eq_u32 s[32:33], v4, s32                   // is thread in edge glvw region
v_and_b32 v0, 63, v[vgprSerial]                    // permute register between threads
v_lshlrev_b32 v0, 2, v0                            // permute register between threads
v_accvgpr_read_b32 v5, acc128                      // glvw 3 mb 4 tt1 0 r 0
s_nop 1                                            // v_accvgpr read vgpr after write vgpr: 2 wait states
ds_bpermute_b32 v5, v0, v5, offset:20              // permute edge values
s_waitcnt 0                                        // wait for swizzle operation
v_accvgpr_write_b32 acc128, v5                     // 
v_accvgpr_read_b32 v5, acc129                      // glvw 3 mb 4 tt1 1 r 0
s_nop 1                                            // v_accvgpr read vgpr after write vgpr: 2 wait states
ds_bpermute_b32 v5, v0, v5, offset:20              // permute edge values
s_waitcnt 0                                        // wait for swizzle operation
v_accvgpr_write_b32 acc129, v5                     // 
v_accvgpr_read_b32 v5, acc130                      // glvw 3 mb 4 tt1 2 r 0
s_nop 1                                            // v_accvgpr read vgpr after write vgpr: 2 wait states
ds_bpermute_b32 v5, v0, v5, offset:20              // permute edge values
s_waitcnt 0                                        // wait for swizzle operation
v_accvgpr_write_b32 acc130, v5                     // 
v_accvgpr_read_b32 v5, acc131                      // glvw 3 mb 4 tt1 3 r 0
s_nop 1                                            // v_accvgpr read vgpr after write vgpr: 2 wait states
ds_bpermute_b32 v5, v0, v5, offset:20              // permute edge values
s_waitcnt 0                                        // wait for swizzle operation
v_accvgpr_write_b32 acc131, v5                     // 
v_accvgpr_read_b32 v5, acc132                      // glvw 3 mb 4 tt1 4 r 0
s_nop 1                                            // v_accvgpr read vgpr after write vgpr: 2 wait states
ds_bpermute_b32 v5, v0, v5, offset:20              // permute edge values
s_waitcnt 0                                        // wait for swizzle operation
v_accvgpr_write_b32 acc132, v5                     // 
v_accvgpr_read_b32 v5, acc133                      // glvw 3 mb 4 tt1 5 r 0
s_nop 1                                            // v_accvgpr read vgpr after write vgpr: 2 wait states
ds_bpermute_b32 v5, v0, v5, offset:20              // permute edge values
s_waitcnt 0                                        // wait for swizzle operation
v_accvgpr_write_b32 acc133, v5                     // 
v_accvgpr_read_b32 v5, acc134                      // glvw 3 mb 4 tt1 6 r 0
s_nop 1                                            // v_accvgpr read vgpr after write vgpr: 2 wait states
ds_bpermute_b32 v5, v0, v5, offset:20              // permute edge values
s_waitcnt 0                                        // wait for swizzle operation
v_accvgpr_write_b32 acc134, v5                     // 
v_accvgpr_read_b32 v5, acc135                      // glvw 3 mb 4 tt1 7 r 0
s_nop 1                                            // v_accvgpr read vgpr after write vgpr: 2 wait states
ds_bpermute_b32 v5, v0, v5, offset:20              // permute edge values
s_waitcnt 0                                        // wait for swizzle operation
v_accvgpr_write_b32 acc135, v5                     // 
v_accvgpr_read_b32 v5, acc136                      // glvw 3 mb 4 tt1 8 r 0
s_nop 1                                            // v_accvgpr read vgpr after write vgpr: 2 wait states
ds_bpermute_b32 v5, v0, v5, offset:20              // permute edge values
s_waitcnt 0                                        // wait for swizzle operation
v_accvgpr_write_b32 acc136, v5                     // 
v_accvgpr_read_b32 v5, acc137                      // glvw 3 mb 4 tt1 9 r 0
s_nop 1                                            // v_accvgpr read vgpr after write vgpr: 2 wait states
ds_bpermute_b32 v5, v0, v5, offset:20              // permute edge values
s_waitcnt 0                                        // wait for swizzle operation
v_accvgpr_write_b32 acc137, v5                     // 
v_accvgpr_read_b32 v5, acc138                      // glvw 3 mb 4 tt1 10 r 0
s_nop 1                                            // v_accvgpr read vgpr after write vgpr: 2 wait states
ds_bpermute_b32 v5, v0, v5, offset:20              // permute edge values
s_waitcnt 0                                        // wait for swizzle operation
v_accvgpr_write_b32 acc138, v5                     // 
v_accvgpr_read_b32 v5, acc139                      // glvw 3 mb 4 tt1 11 r 0
s_nop 1                                            // v_accvgpr read vgpr after write vgpr: 2 wait states
ds_bpermute_b32 v5, v0, v5, offset:20              // permute edge values
s_waitcnt 0                                        // wait for swizzle operation
v_accvgpr_write_b32 acc139, v5                     // 
v_accvgpr_read_b32 v5, acc140                      // glvw 3 mb 4 tt1 12 r 0
s_nop 1                                            // v_accvgpr read vgpr after write vgpr: 2 wait states
ds_bpermute_b32 v5, v0, v5, offset:20              // permute edge values
s_waitcnt 0                                        // wait for swizzle operation
v_accvgpr_write_b32 acc140, v5                     // 
v_accvgpr_read_b32 v5, acc141                      // glvw 3 mb 4 tt1 13 r 0
s_nop 1                                            // v_accvgpr read vgpr after write vgpr: 2 wait states
ds_bpermute_b32 v5, v0, v5, offset:20              // permute edge values
s_waitcnt 0                                        // wait for swizzle operation
v_accvgpr_write_b32 acc141, v5                     // 
v_accvgpr_read_b32 v5, acc142                      // glvw 3 mb 4 tt1 14 r 0
s_nop 1                                            // v_accvgpr read vgpr after write vgpr: 2 wait states
ds_bpermute_b32 v5, v0, v5, offset:20              // permute edge values
s_waitcnt 0                                        // wait for swizzle operation
v_accvgpr_write_b32 acc142, v5                     // 
v_accvgpr_read_b32 v5, acc143                      // glvw 3 mb 4 tt1 15 r 0
s_nop 1                                            // v_accvgpr read vgpr after write vgpr: 2 wait states
ds_bpermute_b32 v5, v0, v5, offset:20              // permute edge values
s_waitcnt 0                                        // wait for swizzle operation
v_accvgpr_write_b32 acc143, v5                     // 
v_accvgpr_read_b32 v5, acc144                      // glvw 3 mb 4 tt1 16 r 0
s_nop 1                                            // v_accvgpr read vgpr after write vgpr: 2 wait states
ds_bpermute_b32 v5, v0, v5, offset:20              // permute edge values
s_waitcnt 0                                        // wait for swizzle operation
v_accvgpr_write_b32 acc144, v5                     // 
v_accvgpr_read_b32 v5, acc145                      // glvw 3 mb 4 tt1 17 r 0
s_nop 1                                            // v_accvgpr read vgpr after write vgpr: 2 wait states
ds_bpermute_b32 v5, v0, v5, offset:20              // permute edge values
s_waitcnt 0                                        // wait for swizzle operation
v_accvgpr_write_b32 acc145, v5                     // 
v_accvgpr_read_b32 v5, acc146                      // glvw 3 mb 4 tt1 18 r 0
s_nop 1                                            // v_accvgpr read vgpr after write vgpr: 2 wait states
ds_bpermute_b32 v5, v0, v5, offset:20              // permute edge values
s_waitcnt 0                                        // wait for swizzle operation
v_accvgpr_write_b32 acc146, v5                     // 
v_accvgpr_read_b32 v5, acc147                      // glvw 3 mb 4 tt1 19 r 0
s_nop 1                                            // v_accvgpr read vgpr after write vgpr: 2 wait states
ds_bpermute_b32 v5, v0, v5, offset:20              // permute edge values
s_waitcnt 0                                        // wait for swizzle operation
v_accvgpr_write_b32 acc147, v5                     // 
v_accvgpr_read_b32 v5, acc148                      // glvw 3 mb 4 tt1 20 r 0
s_nop 1                                            // v_accvgpr read vgpr after write vgpr: 2 wait states
ds_bpermute_b32 v5, v0, v5, offset:20              // permute edge values
s_waitcnt 0                                        // wait for swizzle operation
v_accvgpr_write_b32 acc148, v5                     // 
v_accvgpr_read_b32 v5, acc149                      // glvw 3 mb 4 tt1 21 r 0
s_nop 1                                            // v_accvgpr read vgpr after write vgpr: 2 wait states
ds_bpermute_b32 v5, v0, v5, offset:20              // permute edge values
s_waitcnt 0                                        // wait for swizzle operation
v_accvgpr_write_b32 acc149, v5                     // 
v_accvgpr_read_b32 v5, acc150                      // glvw 3 mb 4 tt1 22 r 0
s_nop 1                                            // v_accvgpr read vgpr after write vgpr: 2 wait states
ds_bpermute_b32 v5, v0, v5, offset:20              // permute edge values
s_waitcnt 0                                        // wait for swizzle operation
v_accvgpr_write_b32 acc150, v5                     // 
v_accvgpr_read_b32 v5, acc151                      // glvw 3 mb 4 tt1 23 r 0
s_nop 1                                            // v_accvgpr read vgpr after write vgpr: 2 wait states
ds_bpermute_b32 v5, v0, v5, offset:20              // permute edge values
s_waitcnt 0                                        // wait for swizzle operation
v_accvgpr_write_b32 acc151, v5                     // 
v_accvgpr_read_b32 v5, acc152                      // glvw 3 mb 4 tt1 24 r 0
s_nop 1                                            // v_accvgpr read vgpr after write vgpr: 2 wait states
ds_bpermute_b32 v5, v0, v5, offset:20              // permute edge values
s_waitcnt 0                                        // wait for swizzle operation
v_accvgpr_write_b32 acc152, v5                     // 
v_accvgpr_read_b32 v5, acc153                      // glvw 3 mb 4 tt1 25 r 0
s_nop 1                                            // v_accvgpr read vgpr after write vgpr: 2 wait states
ds_bpermute_b32 v5, v0, v5, offset:20              // permute edge values
s_waitcnt 0                                        // wait for swizzle operation
v_accvgpr_write_b32 acc153, v5                     // 
v_accvgpr_read_b32 v5, acc154                      // glvw 3 mb 4 tt1 26 r 0
s_nop 1                                            // v_accvgpr read vgpr after write vgpr: 2 wait states
ds_bpermute_b32 v5, v0, v5, offset:20              // permute edge values
s_waitcnt 0                                        // wait for swizzle operation
v_accvgpr_write_b32 acc154, v5                     // 
v_accvgpr_read_b32 v5, acc155                      // glvw 3 mb 4 tt1 27 r 0
s_nop 1                                            // v_accvgpr read vgpr after write vgpr: 2 wait states
ds_bpermute_b32 v5, v0, v5, offset:20              // permute edge values
s_waitcnt 0                                        // wait for swizzle operation
v_accvgpr_write_b32 acc155, v5                     // 
v_accvgpr_read_b32 v5, acc156                      // glvw 3 mb 4 tt1 28 r 0
s_nop 1                                            // v_accvgpr read vgpr after write vgpr: 2 wait states
ds_bpermute_b32 v5, v0, v5, offset:20              // permute edge values
s_waitcnt 0                                        // wait for swizzle operation
v_accvgpr_write_b32 acc156, v5                     // 
v_accvgpr_read_b32 v5, acc157                      // glvw 3 mb 4 tt1 29 r 0
s_nop 1                                            // v_accvgpr read vgpr after write vgpr: 2 wait states
ds_bpermute_b32 v5, v0, v5, offset:20              // permute edge values
s_waitcnt 0                                        // wait for swizzle operation
v_accvgpr_write_b32 acc157, v5                     // 
v_accvgpr_read_b32 v5, acc158                      // glvw 3 mb 4 tt1 30 r 0
s_nop 1                                            // v_accvgpr read vgpr after write vgpr: 2 wait states
ds_bpermute_b32 v5, v0, v5, offset:20              // permute edge values
s_waitcnt 0                                        // wait for swizzle operation
v_accvgpr_write_b32 acc158, v5                     // 
v_accvgpr_read_b32 v5, acc159                      // glvw 3 mb 4 tt1 31 r 0
s_nop 1                                            // v_accvgpr read vgpr after write vgpr: 2 wait states
ds_bpermute_b32 v5, v0, v5, offset:20              // permute edge values
s_waitcnt 0                                        // wait for swizzle operation
v_accvgpr_write_b32 acc159, v5                     // 
s_mov_b64 s[32:33], 0xFFFFFFFFFFFFFFFF             // to restore all threads active
s_or_saveexec_b64 vcc, s[32:33]                    // all threads active
s_branch label_0148                                // done shifting


/******************************************/
/* shift d1 r=3 mb=5 vw0                  */
/******************************************/
label_0075: // r3 mb5 vw0 
s_mov_b32 s32, 20                                  // 
_v_cmpx_eq_u32 s[32:33], v4, s32                   // is thread in edge glvw region
v_and_b32 v0, 63, v[vgprSerial]                    // permute register between threads
v_lshlrev_b32 v0, 2, v0                            // permute register between threads
v_accvgpr_read_b32 v5, acc160                      // glvw 3 mb 5 tt1 0 r 0
s_nop 1                                            // v_accvgpr read vgpr after write vgpr: 2 wait states
ds_bpermute_b32 v5, v0, v5, offset:20              // permute edge values
s_waitcnt 0                                        // wait for swizzle operation
v_accvgpr_write_b32 acc160, v5                     // 
v_accvgpr_read_b32 v5, acc161                      // glvw 3 mb 5 tt1 1 r 0
s_nop 1                                            // v_accvgpr read vgpr after write vgpr: 2 wait states
ds_bpermute_b32 v5, v0, v5, offset:20              // permute edge values
s_waitcnt 0                                        // wait for swizzle operation
v_accvgpr_write_b32 acc161, v5                     // 
v_accvgpr_read_b32 v5, acc162                      // glvw 3 mb 5 tt1 2 r 0
s_nop 1                                            // v_accvgpr read vgpr after write vgpr: 2 wait states
ds_bpermute_b32 v5, v0, v5, offset:20              // permute edge values
s_waitcnt 0                                        // wait for swizzle operation
v_accvgpr_write_b32 acc162, v5                     // 
v_accvgpr_read_b32 v5, acc163                      // glvw 3 mb 5 tt1 3 r 0
s_nop 1                                            // v_accvgpr read vgpr after write vgpr: 2 wait states
ds_bpermute_b32 v5, v0, v5, offset:20              // permute edge values
s_waitcnt 0                                        // wait for swizzle operation
v_accvgpr_write_b32 acc163, v5                     // 
v_accvgpr_read_b32 v5, acc164                      // glvw 3 mb 5 tt1 4 r 0
s_nop 1                                            // v_accvgpr read vgpr after write vgpr: 2 wait states
ds_bpermute_b32 v5, v0, v5, offset:20              // permute edge values
s_waitcnt 0                                        // wait for swizzle operation
v_accvgpr_write_b32 acc164, v5                     // 
v_accvgpr_read_b32 v5, acc165                      // glvw 3 mb 5 tt1 5 r 0
s_nop 1                                            // v_accvgpr read vgpr after write vgpr: 2 wait states
ds_bpermute_b32 v5, v0, v5, offset:20              // permute edge values
s_waitcnt 0                                        // wait for swizzle operation
v_accvgpr_write_b32 acc165, v5                     // 
v_accvgpr_read_b32 v5, acc166                      // glvw 3 mb 5 tt1 6 r 0
s_nop 1                                            // v_accvgpr read vgpr after write vgpr: 2 wait states
ds_bpermute_b32 v5, v0, v5, offset:20              // permute edge values
s_waitcnt 0                                        // wait for swizzle operation
v_accvgpr_write_b32 acc166, v5                     // 
v_accvgpr_read_b32 v5, acc167                      // glvw 3 mb 5 tt1 7 r 0
s_nop 1                                            // v_accvgpr read vgpr after write vgpr: 2 wait states
ds_bpermute_b32 v5, v0, v5, offset:20              // permute edge values
s_waitcnt 0                                        // wait for swizzle operation
v_accvgpr_write_b32 acc167, v5                     // 
v_accvgpr_read_b32 v5, acc168                      // glvw 3 mb 5 tt1 8 r 0
s_nop 1                                            // v_accvgpr read vgpr after write vgpr: 2 wait states
ds_bpermute_b32 v5, v0, v5, offset:20              // permute edge values
s_waitcnt 0                                        // wait for swizzle operation
v_accvgpr_write_b32 acc168, v5                     // 
v_accvgpr_read_b32 v5, acc169                      // glvw 3 mb 5 tt1 9 r 0
s_nop 1                                            // v_accvgpr read vgpr after write vgpr: 2 wait states
ds_bpermute_b32 v5, v0, v5, offset:20              // permute edge values
s_waitcnt 0                                        // wait for swizzle operation
v_accvgpr_write_b32 acc169, v5                     // 
v_accvgpr_read_b32 v5, acc170                      // glvw 3 mb 5 tt1 10 r 0
s_nop 1                                            // v_accvgpr read vgpr after write vgpr: 2 wait states
ds_bpermute_b32 v5, v0, v5, offset:20              // permute edge values
s_waitcnt 0                                        // wait for swizzle operation
v_accvgpr_write_b32 acc170, v5                     // 
v_accvgpr_read_b32 v5, acc171                      // glvw 3 mb 5 tt1 11 r 0
s_nop 1                                            // v_accvgpr read vgpr after write vgpr: 2 wait states
ds_bpermute_b32 v5, v0, v5, offset:20              // permute edge values
s_waitcnt 0                                        // wait for swizzle operation
v_accvgpr_write_b32 acc171, v5                     // 
v_accvgpr_read_b32 v5, acc172                      // glvw 3 mb 5 tt1 12 r 0
s_nop 1                                            // v_accvgpr read vgpr after write vgpr: 2 wait states
ds_bpermute_b32 v5, v0, v5, offset:20              // permute edge values
s_waitcnt 0                                        // wait for swizzle operation
v_accvgpr_write_b32 acc172, v5                     // 
v_accvgpr_read_b32 v5, acc173                      // glvw 3 mb 5 tt1 13 r 0
s_nop 1                                            // v_accvgpr read vgpr after write vgpr: 2 wait states
ds_bpermute_b32 v5, v0, v5, offset:20              // permute edge values
s_waitcnt 0                                        // wait for swizzle operation
v_accvgpr_write_b32 acc173, v5                     // 
v_accvgpr_read_b32 v5, acc174                      // glvw 3 mb 5 tt1 14 r 0
s_nop 1                                            // v_accvgpr read vgpr after write vgpr: 2 wait states
ds_bpermute_b32 v5, v0, v5, offset:20              // permute edge values
s_waitcnt 0                                        // wait for swizzle operation
v_accvgpr_write_b32 acc174, v5                     // 
v_accvgpr_read_b32 v5, acc175                      // glvw 3 mb 5 tt1 15 r 0
s_nop 1                                            // v_accvgpr read vgpr after write vgpr: 2 wait states
ds_bpermute_b32 v5, v0, v5, offset:20              // permute edge values
s_waitcnt 0                                        // wait for swizzle operation
v_accvgpr_write_b32 acc175, v5                     // 
v_accvgpr_read_b32 v5, acc176                      // glvw 3 mb 5 tt1 16 r 0
s_nop 1                                            // v_accvgpr read vgpr after write vgpr: 2 wait states
ds_bpermute_b32 v5, v0, v5, offset:20              // permute edge values
s_waitcnt 0                                        // wait for swizzle operation
v_accvgpr_write_b32 acc176, v5                     // 
v_accvgpr_read_b32 v5, acc177                      // glvw 3 mb 5 tt1 17 r 0
s_nop 1                                            // v_accvgpr read vgpr after write vgpr: 2 wait states
ds_bpermute_b32 v5, v0, v5, offset:20              // permute edge values
s_waitcnt 0                                        // wait for swizzle operation
v_accvgpr_write_b32 acc177, v5                     // 
v_accvgpr_read_b32 v5, acc178                      // glvw 3 mb 5 tt1 18 r 0
s_nop 1                                            // v_accvgpr read vgpr after write vgpr: 2 wait states
ds_bpermute_b32 v5, v0, v5, offset:20              // permute edge values
s_waitcnt 0                                        // wait for swizzle operation
v_accvgpr_write_b32 acc178, v5                     // 
v_accvgpr_read_b32 v5, acc179                      // glvw 3 mb 5 tt1 19 r 0
s_nop 1                                            // v_accvgpr read vgpr after write vgpr: 2 wait states
ds_bpermute_b32 v5, v0, v5, offset:20              // permute edge values
s_waitcnt 0                                        // wait for swizzle operation
v_accvgpr_write_b32 acc179, v5                     // 
v_accvgpr_read_b32 v5, acc180                      // glvw 3 mb 5 tt1 20 r 0
s_nop 1                                            // v_accvgpr read vgpr after write vgpr: 2 wait states
ds_bpermute_b32 v5, v0, v5, offset:20              // permute edge values
s_waitcnt 0                                        // wait for swizzle operation
v_accvgpr_write_b32 acc180, v5                     // 
v_accvgpr_read_b32 v5, acc181                      // glvw 3 mb 5 tt1 21 r 0
s_nop 1                                            // v_accvgpr read vgpr after write vgpr: 2 wait states
ds_bpermute_b32 v5, v0, v5, offset:20              // permute edge values
s_waitcnt 0                                        // wait for swizzle operation
v_accvgpr_write_b32 acc181, v5                     // 
v_accvgpr_read_b32 v5, acc182                      // glvw 3 mb 5 tt1 22 r 0
s_nop 1                                            // v_accvgpr read vgpr after write vgpr: 2 wait states
ds_bpermute_b32 v5, v0, v5, offset:20              // permute edge values
s_waitcnt 0                                        // wait for swizzle operation
v_accvgpr_write_b32 acc182, v5                     // 
v_accvgpr_read_b32 v5, acc183                      // glvw 3 mb 5 tt1 23 r 0
s_nop 1                                            // v_accvgpr read vgpr after write vgpr: 2 wait states
ds_bpermute_b32 v5, v0, v5, offset:20              // permute edge values
s_waitcnt 0                                        // wait for swizzle operation
v_accvgpr_write_b32 acc183, v5                     // 
v_accvgpr_read_b32 v5, acc184                      // glvw 3 mb 5 tt1 24 r 0
s_nop 1                                            // v_accvgpr read vgpr after write vgpr: 2 wait states
ds_bpermute_b32 v5, v0, v5, offset:20              // permute edge values
s_waitcnt 0                                        // wait for swizzle operation
v_accvgpr_write_b32 acc184, v5                     // 
v_accvgpr_read_b32 v5, acc185                      // glvw 3 mb 5 tt1 25 r 0
s_nop 1                                            // v_accvgpr read vgpr after write vgpr: 2 wait states
ds_bpermute_b32 v5, v0, v5, offset:20              // permute edge values
s_waitcnt 0                                        // wait for swizzle operation
v_accvgpr_write_b32 acc185, v5                     // 
v_accvgpr_read_b32 v5, acc186                      // glvw 3 mb 5 tt1 26 r 0
s_nop 1                                            // v_accvgpr read vgpr after write vgpr: 2 wait states
ds_bpermute_b32 v5, v0, v5, offset:20              // permute edge values
s_waitcnt 0                                        // wait for swizzle operation
v_accvgpr_write_b32 acc186, v5                     // 
v_accvgpr_read_b32 v5, acc187                      // glvw 3 mb 5 tt1 27 r 0
s_nop 1                                            // v_accvgpr read vgpr after write vgpr: 2 wait states
ds_bpermute_b32 v5, v0, v5, offset:20              // permute edge values
s_waitcnt 0                                        // wait for swizzle operation
v_accvgpr_write_b32 acc187, v5                     // 
v_accvgpr_read_b32 v5, acc188                      // glvw 3 mb 5 tt1 28 r 0
s_nop 1                                            // v_accvgpr read vgpr after write vgpr: 2 wait states
ds_bpermute_b32 v5, v0, v5, offset:20              // permute edge values
s_waitcnt 0                                        // wait for swizzle operation
v_accvgpr_write_b32 acc188, v5                     // 
v_accvgpr_read_b32 v5, acc189                      // glvw 3 mb 5 tt1 29 r 0
s_nop 1                                            // v_accvgpr read vgpr after write vgpr: 2 wait states
ds_bpermute_b32 v5, v0, v5, offset:20              // permute edge values
s_waitcnt 0                                        // wait for swizzle operation
v_accvgpr_write_b32 acc189, v5                     // 
v_accvgpr_read_b32 v5, acc190                      // glvw 3 mb 5 tt1 30 r 0
s_nop 1                                            // v_accvgpr read vgpr after write vgpr: 2 wait states
ds_bpermute_b32 v5, v0, v5, offset:20              // permute edge values
s_waitcnt 0                                        // wait for swizzle operation
v_accvgpr_write_b32 acc190, v5                     // 
v_accvgpr_read_b32 v5, acc191                      // glvw 3 mb 5 tt1 31 r 0
s_nop 1                                            // v_accvgpr read vgpr after write vgpr: 2 wait states
ds_bpermute_b32 v5, v0, v5, offset:20              // permute edge values
s_waitcnt 0                                        // wait for swizzle operation
v_accvgpr_write_b32 acc191, v5                     // 
s_mov_b64 s[32:33], 0xFFFFFFFFFFFFFFFF             // to restore all threads active
s_or_saveexec_b64 vcc, s[32:33]                    // all threads active
s_branch label_0148                                // done shifting


/******************************************/
/* shift d1 r=3 mb=6 vw0                  */
/******************************************/
label_0077: // r3 mb6 vw0 
s_mov_b32 s32, 24                                  // 
_v_cmpx_eq_u32 s[32:33], v4, s32                   // is thread in edge glvw region
v_and_b32 v0, 63, v[vgprSerial]                    // permute register between threads
v_lshlrev_b32 v0, 2, v0                            // permute register between threads
v_accvgpr_read_b32 v5, acc192                      // glvw 3 mb 6 tt1 0 r 0
s_nop 1                                            // v_accvgpr read vgpr after write vgpr: 2 wait states
ds_bpermute_b32 v5, v0, v5, offset:20              // permute edge values
s_waitcnt 0                                        // wait for swizzle operation
v_accvgpr_write_b32 acc192, v5                     // 
v_accvgpr_read_b32 v5, acc193                      // glvw 3 mb 6 tt1 1 r 0
s_nop 1                                            // v_accvgpr read vgpr after write vgpr: 2 wait states
ds_bpermute_b32 v5, v0, v5, offset:20              // permute edge values
s_waitcnt 0                                        // wait for swizzle operation
v_accvgpr_write_b32 acc193, v5                     // 
v_accvgpr_read_b32 v5, acc194                      // glvw 3 mb 6 tt1 2 r 0
s_nop 1                                            // v_accvgpr read vgpr after write vgpr: 2 wait states
ds_bpermute_b32 v5, v0, v5, offset:20              // permute edge values
s_waitcnt 0                                        // wait for swizzle operation
v_accvgpr_write_b32 acc194, v5                     // 
v_accvgpr_read_b32 v5, acc195                      // glvw 3 mb 6 tt1 3 r 0
s_nop 1                                            // v_accvgpr read vgpr after write vgpr: 2 wait states
ds_bpermute_b32 v5, v0, v5, offset:20              // permute edge values
s_waitcnt 0                                        // wait for swizzle operation
v_accvgpr_write_b32 acc195, v5                     // 
v_accvgpr_read_b32 v5, acc196                      // glvw 3 mb 6 tt1 4 r 0
s_nop 1                                            // v_accvgpr read vgpr after write vgpr: 2 wait states
ds_bpermute_b32 v5, v0, v5, offset:20              // permute edge values
s_waitcnt 0                                        // wait for swizzle operation
v_accvgpr_write_b32 acc196, v5                     // 
v_accvgpr_read_b32 v5, acc197                      // glvw 3 mb 6 tt1 5 r 0
s_nop 1                                            // v_accvgpr read vgpr after write vgpr: 2 wait states
ds_bpermute_b32 v5, v0, v5, offset:20              // permute edge values
s_waitcnt 0                                        // wait for swizzle operation
v_accvgpr_write_b32 acc197, v5                     // 
v_accvgpr_read_b32 v5, acc198                      // glvw 3 mb 6 tt1 6 r 0
s_nop 1                                            // v_accvgpr read vgpr after write vgpr: 2 wait states
ds_bpermute_b32 v5, v0, v5, offset:20              // permute edge values
s_waitcnt 0                                        // wait for swizzle operation
v_accvgpr_write_b32 acc198, v5                     // 
v_accvgpr_read_b32 v5, acc199                      // glvw 3 mb 6 tt1 7 r 0
s_nop 1                                            // v_accvgpr read vgpr after write vgpr: 2 wait states
ds_bpermute_b32 v5, v0, v5, offset:20              // permute edge values
s_waitcnt 0                                        // wait for swizzle operation
v_accvgpr_write_b32 acc199, v5                     // 
v_accvgpr_read_b32 v5, acc200                      // glvw 3 mb 6 tt1 8 r 0
s_nop 1                                            // v_accvgpr read vgpr after write vgpr: 2 wait states
ds_bpermute_b32 v5, v0, v5, offset:20              // permute edge values
s_waitcnt 0                                        // wait for swizzle operation
v_accvgpr_write_b32 acc200, v5                     // 
v_accvgpr_read_b32 v5, acc201                      // glvw 3 mb 6 tt1 9 r 0
s_nop 1                                            // v_accvgpr read vgpr after write vgpr: 2 wait states
ds_bpermute_b32 v5, v0, v5, offset:20              // permute edge values
s_waitcnt 0                                        // wait for swizzle operation
v_accvgpr_write_b32 acc201, v5                     // 
v_accvgpr_read_b32 v5, acc202                      // glvw 3 mb 6 tt1 10 r 0
s_nop 1                                            // v_accvgpr read vgpr after write vgpr: 2 wait states
ds_bpermute_b32 v5, v0, v5, offset:20              // permute edge values
s_waitcnt 0                                        // wait for swizzle operation
v_accvgpr_write_b32 acc202, v5                     // 
v_accvgpr_read_b32 v5, acc203                      // glvw 3 mb 6 tt1 11 r 0
s_nop 1                                            // v_accvgpr read vgpr after write vgpr: 2 wait states
ds_bpermute_b32 v5, v0, v5, offset:20              // permute edge values
s_waitcnt 0                                        // wait for swizzle operation
v_accvgpr_write_b32 acc203, v5                     // 
v_accvgpr_read_b32 v5, acc204                      // glvw 3 mb 6 tt1 12 r 0
s_nop 1                                            // v_accvgpr read vgpr after write vgpr: 2 wait states
ds_bpermute_b32 v5, v0, v5, offset:20              // permute edge values
s_waitcnt 0                                        // wait for swizzle operation
v_accvgpr_write_b32 acc204, v5                     // 
v_accvgpr_read_b32 v5, acc205                      // glvw 3 mb 6 tt1 13 r 0
s_nop 1                                            // v_accvgpr read vgpr after write vgpr: 2 wait states
ds_bpermute_b32 v5, v0, v5, offset:20              // permute edge values
s_waitcnt 0                                        // wait for swizzle operation
v_accvgpr_write_b32 acc205, v5                     // 
v_accvgpr_read_b32 v5, acc206                      // glvw 3 mb 6 tt1 14 r 0
s_nop 1                                            // v_accvgpr read vgpr after write vgpr: 2 wait states
ds_bpermute_b32 v5, v0, v5, offset:20              // permute edge values
s_waitcnt 0                                        // wait for swizzle operation
v_accvgpr_write_b32 acc206, v5                     // 
v_accvgpr_read_b32 v5, acc207                      // glvw 3 mb 6 tt1 15 r 0
s_nop 1                                            // v_accvgpr read vgpr after write vgpr: 2 wait states
ds_bpermute_b32 v5, v0, v5, offset:20              // permute edge values
s_waitcnt 0                                        // wait for swizzle operation
v_accvgpr_write_b32 acc207, v5                     // 
v_accvgpr_read_b32 v5, acc208                      // glvw 3 mb 6 tt1 16 r 0
s_nop 1                                            // v_accvgpr read vgpr after write vgpr: 2 wait states
ds_bpermute_b32 v5, v0, v5, offset:20              // permute edge values
s_waitcnt 0                                        // wait for swizzle operation
v_accvgpr_write_b32 acc208, v5                     // 
v_accvgpr_read_b32 v5, acc209                      // glvw 3 mb 6 tt1 17 r 0
s_nop 1                                            // v_accvgpr read vgpr after write vgpr: 2 wait states
ds_bpermute_b32 v5, v0, v5, offset:20              // permute edge values
s_waitcnt 0                                        // wait for swizzle operation
v_accvgpr_write_b32 acc209, v5                     // 
v_accvgpr_read_b32 v5, acc210                      // glvw 3 mb 6 tt1 18 r 0
s_nop 1                                            // v_accvgpr read vgpr after write vgpr: 2 wait states
ds_bpermute_b32 v5, v0, v5, offset:20              // permute edge values
s_waitcnt 0                                        // wait for swizzle operation
v_accvgpr_write_b32 acc210, v5                     // 
v_accvgpr_read_b32 v5, acc211                      // glvw 3 mb 6 tt1 19 r 0
s_nop 1                                            // v_accvgpr read vgpr after write vgpr: 2 wait states
ds_bpermute_b32 v5, v0, v5, offset:20              // permute edge values
s_waitcnt 0                                        // wait for swizzle operation
v_accvgpr_write_b32 acc211, v5                     // 
v_accvgpr_read_b32 v5, acc212                      // glvw 3 mb 6 tt1 20 r 0
s_nop 1                                            // v_accvgpr read vgpr after write vgpr: 2 wait states
ds_bpermute_b32 v5, v0, v5, offset:20              // permute edge values
s_waitcnt 0                                        // wait for swizzle operation
v_accvgpr_write_b32 acc212, v5                     // 
v_accvgpr_read_b32 v5, acc213                      // glvw 3 mb 6 tt1 21 r 0
s_nop 1                                            // v_accvgpr read vgpr after write vgpr: 2 wait states
ds_bpermute_b32 v5, v0, v5, offset:20              // permute edge values
s_waitcnt 0                                        // wait for swizzle operation
v_accvgpr_write_b32 acc213, v5                     // 
v_accvgpr_read_b32 v5, acc214                      // glvw 3 mb 6 tt1 22 r 0
s_nop 1                                            // v_accvgpr read vgpr after write vgpr: 2 wait states
ds_bpermute_b32 v5, v0, v5, offset:20              // permute edge values
s_waitcnt 0                                        // wait for swizzle operation
v_accvgpr_write_b32 acc214, v5                     // 
v_accvgpr_read_b32 v5, acc215                      // glvw 3 mb 6 tt1 23 r 0
s_nop 1                                            // v_accvgpr read vgpr after write vgpr: 2 wait states
ds_bpermute_b32 v5, v0, v5, offset:20              // permute edge values
s_waitcnt 0                                        // wait for swizzle operation
v_accvgpr_write_b32 acc215, v5                     // 
v_accvgpr_read_b32 v5, acc216                      // glvw 3 mb 6 tt1 24 r 0
s_nop 1                                            // v_accvgpr read vgpr after write vgpr: 2 wait states
ds_bpermute_b32 v5, v0, v5, offset:20              // permute edge values
s_waitcnt 0                                        // wait for swizzle operation
v_accvgpr_write_b32 acc216, v5                     // 
v_accvgpr_read_b32 v5, acc217                      // glvw 3 mb 6 tt1 25 r 0
s_nop 1                                            // v_accvgpr read vgpr after write vgpr: 2 wait states
ds_bpermute_b32 v5, v0, v5, offset:20              // permute edge values
s_waitcnt 0                                        // wait for swizzle operation
v_accvgpr_write_b32 acc217, v5                     // 
v_accvgpr_read_b32 v5, acc218                      // glvw 3 mb 6 tt1 26 r 0
s_nop 1                                            // v_accvgpr read vgpr after write vgpr: 2 wait states
ds_bpermute_b32 v5, v0, v5, offset:20              // permute edge values
s_waitcnt 0                                        // wait for swizzle operation
v_accvgpr_write_b32 acc218, v5                     // 
v_accvgpr_read_b32 v5, acc219                      // glvw 3 mb 6 tt1 27 r 0
s_nop 1                                            // v_accvgpr read vgpr after write vgpr: 2 wait states
ds_bpermute_b32 v5, v0, v5, offset:20              // permute edge values
s_waitcnt 0                                        // wait for swizzle operation
v_accvgpr_write_b32 acc219, v5                     // 
v_accvgpr_read_b32 v5, acc220                      // glvw 3 mb 6 tt1 28 r 0
s_nop 1                                            // v_accvgpr read vgpr after write vgpr: 2 wait states
ds_bpermute_b32 v5, v0, v5, offset:20              // permute edge values
s_waitcnt 0                                        // wait for swizzle operation
v_accvgpr_write_b32 acc220, v5                     // 
v_accvgpr_read_b32 v5, acc221                      // glvw 3 mb 6 tt1 29 r 0
s_nop 1                                            // v_accvgpr read vgpr after write vgpr: 2 wait states
ds_bpermute_b32 v5, v0, v5, offset:20              // permute edge values
s_waitcnt 0                                        // wait for swizzle operation
v_accvgpr_write_b32 acc221, v5                     // 
v_accvgpr_read_b32 v5, acc222                      // glvw 3 mb 6 tt1 30 r 0
s_nop 1                                            // v_accvgpr read vgpr after write vgpr: 2 wait states
ds_bpermute_b32 v5, v0, v5, offset:20              // permute edge values
s_waitcnt 0                                        // wait for swizzle operation
v_accvgpr_write_b32 acc222, v5                     // 
v_accvgpr_read_b32 v5, acc223                      // glvw 3 mb 6 tt1 31 r 0
s_nop 1                                            // v_accvgpr read vgpr after write vgpr: 2 wait states
ds_bpermute_b32 v5, v0, v5, offset:20              // permute edge values
s_waitcnt 0                                        // wait for swizzle operation
v_accvgpr_write_b32 acc223, v5                     // 
s_mov_b64 s[32:33], 0xFFFFFFFFFFFFFFFF             // to restore all threads active
s_or_saveexec_b64 vcc, s[32:33]                    // all threads active
s_branch label_0148                                // done shifting


/******************************************/
/* shift d1 r=3 mb=7 vw0                  */
/******************************************/
label_0079: // r3 mb7 vw0 
s_mov_b32 s32, 28                                  // 
_v_cmpx_eq_u32 s[32:33], v4, s32                   // is thread in edge glvw region
v_and_b32 v0, 63, v[vgprSerial]                    // permute register between threads
v_lshlrev_b32 v0, 2, v0                            // permute register between threads
v_accvgpr_read_b32 v5, acc224                      // glvw 3 mb 7 tt1 0 r 0
s_nop 1                                            // v_accvgpr read vgpr after write vgpr: 2 wait states
ds_bpermute_b32 v5, v0, v5, offset:20              // permute edge values
s_waitcnt 0                                        // wait for swizzle operation
v_accvgpr_write_b32 acc224, v5                     // 
v_accvgpr_read_b32 v5, acc225                      // glvw 3 mb 7 tt1 1 r 0
s_nop 1                                            // v_accvgpr read vgpr after write vgpr: 2 wait states
ds_bpermute_b32 v5, v0, v5, offset:20              // permute edge values
s_waitcnt 0                                        // wait for swizzle operation
v_accvgpr_write_b32 acc225, v5                     // 
v_accvgpr_read_b32 v5, acc226                      // glvw 3 mb 7 tt1 2 r 0
s_nop 1                                            // v_accvgpr read vgpr after write vgpr: 2 wait states
ds_bpermute_b32 v5, v0, v5, offset:20              // permute edge values
s_waitcnt 0                                        // wait for swizzle operation
v_accvgpr_write_b32 acc226, v5                     // 
v_accvgpr_read_b32 v5, acc227                      // glvw 3 mb 7 tt1 3 r 0
s_nop 1                                            // v_accvgpr read vgpr after write vgpr: 2 wait states
ds_bpermute_b32 v5, v0, v5, offset:20              // permute edge values
s_waitcnt 0                                        // wait for swizzle operation
v_accvgpr_write_b32 acc227, v5                     // 
v_accvgpr_read_b32 v5, acc228                      // glvw 3 mb 7 tt1 4 r 0
s_nop 1                                            // v_accvgpr read vgpr after write vgpr: 2 wait states
ds_bpermute_b32 v5, v0, v5, offset:20              // permute edge values
s_waitcnt 0                                        // wait for swizzle operation
v_accvgpr_write_b32 acc228, v5                     // 
v_accvgpr_read_b32 v5, acc229                      // glvw 3 mb 7 tt1 5 r 0
s_nop 1                                            // v_accvgpr read vgpr after write vgpr: 2 wait states
ds_bpermute_b32 v5, v0, v5, offset:20              // permute edge values
s_waitcnt 0                                        // wait for swizzle operation
v_accvgpr_write_b32 acc229, v5                     // 
v_accvgpr_read_b32 v5, acc230                      // glvw 3 mb 7 tt1 6 r 0
s_nop 1                                            // v_accvgpr read vgpr after write vgpr: 2 wait states
ds_bpermute_b32 v5, v0, v5, offset:20              // permute edge values
s_waitcnt 0                                        // wait for swizzle operation
v_accvgpr_write_b32 acc230, v5                     // 
v_accvgpr_read_b32 v5, acc231                      // glvw 3 mb 7 tt1 7 r 0
s_nop 1                                            // v_accvgpr read vgpr after write vgpr: 2 wait states
ds_bpermute_b32 v5, v0, v5, offset:20              // permute edge values
s_waitcnt 0                                        // wait for swizzle operation
v_accvgpr_write_b32 acc231, v5                     // 
v_accvgpr_read_b32 v5, acc232                      // glvw 3 mb 7 tt1 8 r 0
s_nop 1                                            // v_accvgpr read vgpr after write vgpr: 2 wait states
ds_bpermute_b32 v5, v0, v5, offset:20              // permute edge values
s_waitcnt 0                                        // wait for swizzle operation
v_accvgpr_write_b32 acc232, v5                     // 
v_accvgpr_read_b32 v5, acc233                      // glvw 3 mb 7 tt1 9 r 0
s_nop 1                                            // v_accvgpr read vgpr after write vgpr: 2 wait states
ds_bpermute_b32 v5, v0, v5, offset:20              // permute edge values
s_waitcnt 0                                        // wait for swizzle operation
v_accvgpr_write_b32 acc233, v5                     // 
v_accvgpr_read_b32 v5, acc234                      // glvw 3 mb 7 tt1 10 r 0
s_nop 1                                            // v_accvgpr read vgpr after write vgpr: 2 wait states
ds_bpermute_b32 v5, v0, v5, offset:20              // permute edge values
s_waitcnt 0                                        // wait for swizzle operation
v_accvgpr_write_b32 acc234, v5                     // 
v_accvgpr_read_b32 v5, acc235                      // glvw 3 mb 7 tt1 11 r 0
s_nop 1                                            // v_accvgpr read vgpr after write vgpr: 2 wait states
ds_bpermute_b32 v5, v0, v5, offset:20              // permute edge values
s_waitcnt 0                                        // wait for swizzle operation
v_accvgpr_write_b32 acc235, v5                     // 
v_accvgpr_read_b32 v5, acc236                      // glvw 3 mb 7 tt1 12 r 0
s_nop 1                                            // v_accvgpr read vgpr after write vgpr: 2 wait states
ds_bpermute_b32 v5, v0, v5, offset:20              // permute edge values
s_waitcnt 0                                        // wait for swizzle operation
v_accvgpr_write_b32 acc236, v5                     // 
v_accvgpr_read_b32 v5, acc237                      // glvw 3 mb 7 tt1 13 r 0
s_nop 1                                            // v_accvgpr read vgpr after write vgpr: 2 wait states
ds_bpermute_b32 v5, v0, v5, offset:20              // permute edge values
s_waitcnt 0                                        // wait for swizzle operation
v_accvgpr_write_b32 acc237, v5                     // 
v_accvgpr_read_b32 v5, acc238                      // glvw 3 mb 7 tt1 14 r 0
s_nop 1                                            // v_accvgpr read vgpr after write vgpr: 2 wait states
ds_bpermute_b32 v5, v0, v5, offset:20              // permute edge values
s_waitcnt 0                                        // wait for swizzle operation
v_accvgpr_write_b32 acc238, v5                     // 
v_accvgpr_read_b32 v5, acc239                      // glvw 3 mb 7 tt1 15 r 0
s_nop 1                                            // v_accvgpr read vgpr after write vgpr: 2 wait states
ds_bpermute_b32 v5, v0, v5, offset:20              // permute edge values
s_waitcnt 0                                        // wait for swizzle operation
v_accvgpr_write_b32 acc239, v5                     // 
v_accvgpr_read_b32 v5, acc240                      // glvw 3 mb 7 tt1 16 r 0
s_nop 1                                            // v_accvgpr read vgpr after write vgpr: 2 wait states
ds_bpermute_b32 v5, v0, v5, offset:20              // permute edge values
s_waitcnt 0                                        // wait for swizzle operation
v_accvgpr_write_b32 acc240, v5                     // 
v_accvgpr_read_b32 v5, acc241                      // glvw 3 mb 7 tt1 17 r 0
s_nop 1                                            // v_accvgpr read vgpr after write vgpr: 2 wait states
ds_bpermute_b32 v5, v0, v5, offset:20              // permute edge values
s_waitcnt 0                                        // wait for swizzle operation
v_accvgpr_write_b32 acc241, v5                     // 
v_accvgpr_read_b32 v5, acc242                      // glvw 3 mb 7 tt1 18 r 0
s_nop 1                                            // v_accvgpr read vgpr after write vgpr: 2 wait states
ds_bpermute_b32 v5, v0, v5, offset:20              // permute edge values
s_waitcnt 0                                        // wait for swizzle operation
v_accvgpr_write_b32 acc242, v5                     // 
v_accvgpr_read_b32 v5, acc243                      // glvw 3 mb 7 tt1 19 r 0
s_nop 1                                            // v_accvgpr read vgpr after write vgpr: 2 wait states
ds_bpermute_b32 v5, v0, v5, offset:20              // permute edge values
s_waitcnt 0                                        // wait for swizzle operation
v_accvgpr_write_b32 acc243, v5                     // 
v_accvgpr_read_b32 v5, acc244                      // glvw 3 mb 7 tt1 20 r 0
s_nop 1                                            // v_accvgpr read vgpr after write vgpr: 2 wait states
ds_bpermute_b32 v5, v0, v5, offset:20              // permute edge values
s_waitcnt 0                                        // wait for swizzle operation
v_accvgpr_write_b32 acc244, v5                     // 
v_accvgpr_read_b32 v5, acc245                      // glvw 3 mb 7 tt1 21 r 0
s_nop 1                                            // v_accvgpr read vgpr after write vgpr: 2 wait states
ds_bpermute_b32 v5, v0, v5, offset:20              // permute edge values
s_waitcnt 0                                        // wait for swizzle operation
v_accvgpr_write_b32 acc245, v5                     // 
v_accvgpr_read_b32 v5, acc246                      // glvw 3 mb 7 tt1 22 r 0
s_nop 1                                            // v_accvgpr read vgpr after write vgpr: 2 wait states
ds_bpermute_b32 v5, v0, v5, offset:20              // permute edge values
s_waitcnt 0                                        // wait for swizzle operation
v_accvgpr_write_b32 acc246, v5                     // 
v_accvgpr_read_b32 v5, acc247                      // glvw 3 mb 7 tt1 23 r 0
s_nop 1                                            // v_accvgpr read vgpr after write vgpr: 2 wait states
ds_bpermute_b32 v5, v0, v5, offset:20              // permute edge values
s_waitcnt 0                                        // wait for swizzle operation
v_accvgpr_write_b32 acc247, v5                     // 
v_accvgpr_read_b32 v5, acc248                      // glvw 3 mb 7 tt1 24 r 0
s_nop 1                                            // v_accvgpr read vgpr after write vgpr: 2 wait states
ds_bpermute_b32 v5, v0, v5, offset:20              // permute edge values
s_waitcnt 0                                        // wait for swizzle operation
v_accvgpr_write_b32 acc248, v5                     // 
v_accvgpr_read_b32 v5, acc249                      // glvw 3 mb 7 tt1 25 r 0
s_nop 1                                            // v_accvgpr read vgpr after write vgpr: 2 wait states
ds_bpermute_b32 v5, v0, v5, offset:20              // permute edge values
s_waitcnt 0                                        // wait for swizzle operation
v_accvgpr_write_b32 acc249, v5                     // 
v_accvgpr_read_b32 v5, acc250                      // glvw 3 mb 7 tt1 26 r 0
s_nop 1                                            // v_accvgpr read vgpr after write vgpr: 2 wait states
ds_bpermute_b32 v5, v0, v5, offset:20              // permute edge values
s_waitcnt 0                                        // wait for swizzle operation
v_accvgpr_write_b32 acc250, v5                     // 
v_accvgpr_read_b32 v5, acc251                      // glvw 3 mb 7 tt1 27 r 0
s_nop 1                                            // v_accvgpr read vgpr after write vgpr: 2 wait states
ds_bpermute_b32 v5, v0, v5, offset:20              // permute edge values
s_waitcnt 0                                        // wait for swizzle operation
v_accvgpr_write_b32 acc251, v5                     // 
v_accvgpr_read_b32 v5, acc252                      // glvw 3 mb 7 tt1 28 r 0
s_nop 1                                            // v_accvgpr read vgpr after write vgpr: 2 wait states
ds_bpermute_b32 v5, v0, v5, offset:20              // permute edge values
s_waitcnt 0                                        // wait for swizzle operation
v_accvgpr_write_b32 acc252, v5                     // 
v_accvgpr_read_b32 v5, acc253                      // glvw 3 mb 7 tt1 29 r 0
s_nop 1                                            // v_accvgpr read vgpr after write vgpr: 2 wait states
ds_bpermute_b32 v5, v0, v5, offset:20              // permute edge values
s_waitcnt 0                                        // wait for swizzle operation
v_accvgpr_write_b32 acc253, v5                     // 
v_accvgpr_read_b32 v5, acc254                      // glvw 3 mb 7 tt1 30 r 0
s_nop 1                                            // v_accvgpr read vgpr after write vgpr: 2 wait states
ds_bpermute_b32 v5, v0, v5, offset:20              // permute edge values
s_waitcnt 0                                        // wait for swizzle operation
v_accvgpr_write_b32 acc254, v5                     // 
v_accvgpr_read_b32 v5, acc255                      // glvw 3 mb 7 tt1 31 r 0
s_nop 1                                            // v_accvgpr read vgpr after write vgpr: 2 wait states
ds_bpermute_b32 v5, v0, v5, offset:20              // permute edge values
s_waitcnt 0                                        // wait for swizzle operation
v_accvgpr_write_b32 acc255, v5                     // 
s_mov_b64 s[32:33], 0xFFFFFFFFFFFFFFFF             // to restore all threads active
s_or_saveexec_b64 vcc, s[32:33]                    // all threads active
s_branch label_0148                                // done shifting


/******************************************/
/* shift d1 r=4 mb=0 vw0                  */
/******************************************/
label_0082: // r4 mb0 vw0 
s_mov_b32 s32, 0                                   // 
_v_cmpx_eq_u32 s[32:33], v4, s32                   // is thread in edge glvw region
v_and_b32 v0, 63, v[vgprSerial]                    // permute register between threads
v_lshlrev_b32 v0, 2, v0                            // permute register between threads
v_accvgpr_read_b32 v5, acc0                        // glvw 4 mb 0 tt1 0 r 0
s_nop 1                                            // v_accvgpr read vgpr after write vgpr: 2 wait states
ds_bpermute_b32 v5, v0, v5, offset:16              // permute edge values
s_waitcnt 0                                        // wait for swizzle operation
v_accvgpr_write_b32 acc0, v5                       // 
v_accvgpr_read_b32 v5, acc1                        // glvw 4 mb 0 tt1 1 r 0
s_nop 1                                            // v_accvgpr read vgpr after write vgpr: 2 wait states
ds_bpermute_b32 v5, v0, v5, offset:16              // permute edge values
s_waitcnt 0                                        // wait for swizzle operation
v_accvgpr_write_b32 acc1, v5                       // 
v_accvgpr_read_b32 v5, acc2                        // glvw 4 mb 0 tt1 2 r 0
s_nop 1                                            // v_accvgpr read vgpr after write vgpr: 2 wait states
ds_bpermute_b32 v5, v0, v5, offset:16              // permute edge values
s_waitcnt 0                                        // wait for swizzle operation
v_accvgpr_write_b32 acc2, v5                       // 
v_accvgpr_read_b32 v5, acc3                        // glvw 4 mb 0 tt1 3 r 0
s_nop 1                                            // v_accvgpr read vgpr after write vgpr: 2 wait states
ds_bpermute_b32 v5, v0, v5, offset:16              // permute edge values
s_waitcnt 0                                        // wait for swizzle operation
v_accvgpr_write_b32 acc3, v5                       // 
v_accvgpr_read_b32 v5, acc4                        // glvw 4 mb 0 tt1 4 r 0
s_nop 1                                            // v_accvgpr read vgpr after write vgpr: 2 wait states
ds_bpermute_b32 v5, v0, v5, offset:16              // permute edge values
s_waitcnt 0                                        // wait for swizzle operation
v_accvgpr_write_b32 acc4, v5                       // 
v_accvgpr_read_b32 v5, acc5                        // glvw 4 mb 0 tt1 5 r 0
s_nop 1                                            // v_accvgpr read vgpr after write vgpr: 2 wait states
ds_bpermute_b32 v5, v0, v5, offset:16              // permute edge values
s_waitcnt 0                                        // wait for swizzle operation
v_accvgpr_write_b32 acc5, v5                       // 
v_accvgpr_read_b32 v5, acc6                        // glvw 4 mb 0 tt1 6 r 0
s_nop 1                                            // v_accvgpr read vgpr after write vgpr: 2 wait states
ds_bpermute_b32 v5, v0, v5, offset:16              // permute edge values
s_waitcnt 0                                        // wait for swizzle operation
v_accvgpr_write_b32 acc6, v5                       // 
v_accvgpr_read_b32 v5, acc7                        // glvw 4 mb 0 tt1 7 r 0
s_nop 1                                            // v_accvgpr read vgpr after write vgpr: 2 wait states
ds_bpermute_b32 v5, v0, v5, offset:16              // permute edge values
s_waitcnt 0                                        // wait for swizzle operation
v_accvgpr_write_b32 acc7, v5                       // 
v_accvgpr_read_b32 v5, acc8                        // glvw 4 mb 0 tt1 8 r 0
s_nop 1                                            // v_accvgpr read vgpr after write vgpr: 2 wait states
ds_bpermute_b32 v5, v0, v5, offset:16              // permute edge values
s_waitcnt 0                                        // wait for swizzle operation
v_accvgpr_write_b32 acc8, v5                       // 
v_accvgpr_read_b32 v5, acc9                        // glvw 4 mb 0 tt1 9 r 0
s_nop 1                                            // v_accvgpr read vgpr after write vgpr: 2 wait states
ds_bpermute_b32 v5, v0, v5, offset:16              // permute edge values
s_waitcnt 0                                        // wait for swizzle operation
v_accvgpr_write_b32 acc9, v5                       // 
v_accvgpr_read_b32 v5, acc10                       // glvw 4 mb 0 tt1 10 r 0
s_nop 1                                            // v_accvgpr read vgpr after write vgpr: 2 wait states
ds_bpermute_b32 v5, v0, v5, offset:16              // permute edge values
s_waitcnt 0                                        // wait for swizzle operation
v_accvgpr_write_b32 acc10, v5                      // 
v_accvgpr_read_b32 v5, acc11                       // glvw 4 mb 0 tt1 11 r 0
s_nop 1                                            // v_accvgpr read vgpr after write vgpr: 2 wait states
ds_bpermute_b32 v5, v0, v5, offset:16              // permute edge values
s_waitcnt 0                                        // wait for swizzle operation
v_accvgpr_write_b32 acc11, v5                      // 
v_accvgpr_read_b32 v5, acc12                       // glvw 4 mb 0 tt1 12 r 0
s_nop 1                                            // v_accvgpr read vgpr after write vgpr: 2 wait states
ds_bpermute_b32 v5, v0, v5, offset:16              // permute edge values
s_waitcnt 0                                        // wait for swizzle operation
v_accvgpr_write_b32 acc12, v5                      // 
v_accvgpr_read_b32 v5, acc13                       // glvw 4 mb 0 tt1 13 r 0
s_nop 1                                            // v_accvgpr read vgpr after write vgpr: 2 wait states
ds_bpermute_b32 v5, v0, v5, offset:16              // permute edge values
s_waitcnt 0                                        // wait for swizzle operation
v_accvgpr_write_b32 acc13, v5                      // 
v_accvgpr_read_b32 v5, acc14                       // glvw 4 mb 0 tt1 14 r 0
s_nop 1                                            // v_accvgpr read vgpr after write vgpr: 2 wait states
ds_bpermute_b32 v5, v0, v5, offset:16              // permute edge values
s_waitcnt 0                                        // wait for swizzle operation
v_accvgpr_write_b32 acc14, v5                      // 
v_accvgpr_read_b32 v5, acc15                       // glvw 4 mb 0 tt1 15 r 0
s_nop 1                                            // v_accvgpr read vgpr after write vgpr: 2 wait states
ds_bpermute_b32 v5, v0, v5, offset:16              // permute edge values
s_waitcnt 0                                        // wait for swizzle operation
v_accvgpr_write_b32 acc15, v5                      // 
v_accvgpr_read_b32 v5, acc16                       // glvw 4 mb 0 tt1 16 r 0
s_nop 1                                            // v_accvgpr read vgpr after write vgpr: 2 wait states
ds_bpermute_b32 v5, v0, v5, offset:16              // permute edge values
s_waitcnt 0                                        // wait for swizzle operation
v_accvgpr_write_b32 acc16, v5                      // 
v_accvgpr_read_b32 v5, acc17                       // glvw 4 mb 0 tt1 17 r 0
s_nop 1                                            // v_accvgpr read vgpr after write vgpr: 2 wait states
ds_bpermute_b32 v5, v0, v5, offset:16              // permute edge values
s_waitcnt 0                                        // wait for swizzle operation
v_accvgpr_write_b32 acc17, v5                      // 
v_accvgpr_read_b32 v5, acc18                       // glvw 4 mb 0 tt1 18 r 0
s_nop 1                                            // v_accvgpr read vgpr after write vgpr: 2 wait states
ds_bpermute_b32 v5, v0, v5, offset:16              // permute edge values
s_waitcnt 0                                        // wait for swizzle operation
v_accvgpr_write_b32 acc18, v5                      // 
v_accvgpr_read_b32 v5, acc19                       // glvw 4 mb 0 tt1 19 r 0
s_nop 1                                            // v_accvgpr read vgpr after write vgpr: 2 wait states
ds_bpermute_b32 v5, v0, v5, offset:16              // permute edge values
s_waitcnt 0                                        // wait for swizzle operation
v_accvgpr_write_b32 acc19, v5                      // 
v_accvgpr_read_b32 v5, acc20                       // glvw 4 mb 0 tt1 20 r 0
s_nop 1                                            // v_accvgpr read vgpr after write vgpr: 2 wait states
ds_bpermute_b32 v5, v0, v5, offset:16              // permute edge values
s_waitcnt 0                                        // wait for swizzle operation
v_accvgpr_write_b32 acc20, v5                      // 
v_accvgpr_read_b32 v5, acc21                       // glvw 4 mb 0 tt1 21 r 0
s_nop 1                                            // v_accvgpr read vgpr after write vgpr: 2 wait states
ds_bpermute_b32 v5, v0, v5, offset:16              // permute edge values
s_waitcnt 0                                        // wait for swizzle operation
v_accvgpr_write_b32 acc21, v5                      // 
v_accvgpr_read_b32 v5, acc22                       // glvw 4 mb 0 tt1 22 r 0
s_nop 1                                            // v_accvgpr read vgpr after write vgpr: 2 wait states
ds_bpermute_b32 v5, v0, v5, offset:16              // permute edge values
s_waitcnt 0                                        // wait for swizzle operation
v_accvgpr_write_b32 acc22, v5                      // 
v_accvgpr_read_b32 v5, acc23                       // glvw 4 mb 0 tt1 23 r 0
s_nop 1                                            // v_accvgpr read vgpr after write vgpr: 2 wait states
ds_bpermute_b32 v5, v0, v5, offset:16              // permute edge values
s_waitcnt 0                                        // wait for swizzle operation
v_accvgpr_write_b32 acc23, v5                      // 
v_accvgpr_read_b32 v5, acc24                       // glvw 4 mb 0 tt1 24 r 0
s_nop 1                                            // v_accvgpr read vgpr after write vgpr: 2 wait states
ds_bpermute_b32 v5, v0, v5, offset:16              // permute edge values
s_waitcnt 0                                        // wait for swizzle operation
v_accvgpr_write_b32 acc24, v5                      // 
v_accvgpr_read_b32 v5, acc25                       // glvw 4 mb 0 tt1 25 r 0
s_nop 1                                            // v_accvgpr read vgpr after write vgpr: 2 wait states
ds_bpermute_b32 v5, v0, v5, offset:16              // permute edge values
s_waitcnt 0                                        // wait for swizzle operation
v_accvgpr_write_b32 acc25, v5                      // 
v_accvgpr_read_b32 v5, acc26                       // glvw 4 mb 0 tt1 26 r 0
s_nop 1                                            // v_accvgpr read vgpr after write vgpr: 2 wait states
ds_bpermute_b32 v5, v0, v5, offset:16              // permute edge values
s_waitcnt 0                                        // wait for swizzle operation
v_accvgpr_write_b32 acc26, v5                      // 
v_accvgpr_read_b32 v5, acc27                       // glvw 4 mb 0 tt1 27 r 0
s_nop 1                                            // v_accvgpr read vgpr after write vgpr: 2 wait states
ds_bpermute_b32 v5, v0, v5, offset:16              // permute edge values
s_waitcnt 0                                        // wait for swizzle operation
v_accvgpr_write_b32 acc27, v5                      // 
v_accvgpr_read_b32 v5, acc28                       // glvw 4 mb 0 tt1 28 r 0
s_nop 1                                            // v_accvgpr read vgpr after write vgpr: 2 wait states
ds_bpermute_b32 v5, v0, v5, offset:16              // permute edge values
s_waitcnt 0                                        // wait for swizzle operation
v_accvgpr_write_b32 acc28, v5                      // 
v_accvgpr_read_b32 v5, acc29                       // glvw 4 mb 0 tt1 29 r 0
s_nop 1                                            // v_accvgpr read vgpr after write vgpr: 2 wait states
ds_bpermute_b32 v5, v0, v5, offset:16              // permute edge values
s_waitcnt 0                                        // wait for swizzle operation
v_accvgpr_write_b32 acc29, v5                      // 
v_accvgpr_read_b32 v5, acc30                       // glvw 4 mb 0 tt1 30 r 0
s_nop 1                                            // v_accvgpr read vgpr after write vgpr: 2 wait states
ds_bpermute_b32 v5, v0, v5, offset:16              // permute edge values
s_waitcnt 0                                        // wait for swizzle operation
v_accvgpr_write_b32 acc30, v5                      // 
v_accvgpr_read_b32 v5, acc31                       // glvw 4 mb 0 tt1 31 r 0
s_nop 1                                            // v_accvgpr read vgpr after write vgpr: 2 wait states
ds_bpermute_b32 v5, v0, v5, offset:16              // permute edge values
s_waitcnt 0                                        // wait for swizzle operation
v_accvgpr_write_b32 acc31, v5                      // 
s_mov_b64 s[32:33], 0xFFFFFFFFFFFFFFFF             // to restore all threads active
s_or_saveexec_b64 vcc, s[32:33]                    // all threads active
s_branch label_0148                                // done shifting


/******************************************/
/* shift d1 r=4 mb=1 vw0                  */
/******************************************/
label_0084: // r4 mb1 vw0 
s_mov_b32 s32, 4                                   // 
_v_cmpx_eq_u32 s[32:33], v4, s32                   // is thread in edge glvw region
v_and_b32 v0, 63, v[vgprSerial]                    // permute register between threads
v_lshlrev_b32 v0, 2, v0                            // permute register between threads
v_accvgpr_read_b32 v5, acc32                       // glvw 4 mb 1 tt1 0 r 0
s_nop 1                                            // v_accvgpr read vgpr after write vgpr: 2 wait states
ds_bpermute_b32 v5, v0, v5, offset:16              // permute edge values
s_waitcnt 0                                        // wait for swizzle operation
v_accvgpr_write_b32 acc32, v5                      // 
v_accvgpr_read_b32 v5, acc33                       // glvw 4 mb 1 tt1 1 r 0
s_nop 1                                            // v_accvgpr read vgpr after write vgpr: 2 wait states
ds_bpermute_b32 v5, v0, v5, offset:16              // permute edge values
s_waitcnt 0                                        // wait for swizzle operation
v_accvgpr_write_b32 acc33, v5                      // 
v_accvgpr_read_b32 v5, acc34                       // glvw 4 mb 1 tt1 2 r 0
s_nop 1                                            // v_accvgpr read vgpr after write vgpr: 2 wait states
ds_bpermute_b32 v5, v0, v5, offset:16              // permute edge values
s_waitcnt 0                                        // wait for swizzle operation
v_accvgpr_write_b32 acc34, v5                      // 
v_accvgpr_read_b32 v5, acc35                       // glvw 4 mb 1 tt1 3 r 0
s_nop 1                                            // v_accvgpr read vgpr after write vgpr: 2 wait states
ds_bpermute_b32 v5, v0, v5, offset:16              // permute edge values
s_waitcnt 0                                        // wait for swizzle operation
v_accvgpr_write_b32 acc35, v5                      // 
v_accvgpr_read_b32 v5, acc36                       // glvw 4 mb 1 tt1 4 r 0
s_nop 1                                            // v_accvgpr read vgpr after write vgpr: 2 wait states
ds_bpermute_b32 v5, v0, v5, offset:16              // permute edge values
s_waitcnt 0                                        // wait for swizzle operation
v_accvgpr_write_b32 acc36, v5                      // 
v_accvgpr_read_b32 v5, acc37                       // glvw 4 mb 1 tt1 5 r 0
s_nop 1                                            // v_accvgpr read vgpr after write vgpr: 2 wait states
ds_bpermute_b32 v5, v0, v5, offset:16              // permute edge values
s_waitcnt 0                                        // wait for swizzle operation
v_accvgpr_write_b32 acc37, v5                      // 
v_accvgpr_read_b32 v5, acc38                       // glvw 4 mb 1 tt1 6 r 0
s_nop 1                                            // v_accvgpr read vgpr after write vgpr: 2 wait states
ds_bpermute_b32 v5, v0, v5, offset:16              // permute edge values
s_waitcnt 0                                        // wait for swizzle operation
v_accvgpr_write_b32 acc38, v5                      // 
v_accvgpr_read_b32 v5, acc39                       // glvw 4 mb 1 tt1 7 r 0
s_nop 1                                            // v_accvgpr read vgpr after write vgpr: 2 wait states
ds_bpermute_b32 v5, v0, v5, offset:16              // permute edge values
s_waitcnt 0                                        // wait for swizzle operation
v_accvgpr_write_b32 acc39, v5                      // 
v_accvgpr_read_b32 v5, acc40                       // glvw 4 mb 1 tt1 8 r 0
s_nop 1                                            // v_accvgpr read vgpr after write vgpr: 2 wait states
ds_bpermute_b32 v5, v0, v5, offset:16              // permute edge values
s_waitcnt 0                                        // wait for swizzle operation
v_accvgpr_write_b32 acc40, v5                      // 
v_accvgpr_read_b32 v5, acc41                       // glvw 4 mb 1 tt1 9 r 0
s_nop 1                                            // v_accvgpr read vgpr after write vgpr: 2 wait states
ds_bpermute_b32 v5, v0, v5, offset:16              // permute edge values
s_waitcnt 0                                        // wait for swizzle operation
v_accvgpr_write_b32 acc41, v5                      // 
v_accvgpr_read_b32 v5, acc42                       // glvw 4 mb 1 tt1 10 r 0
s_nop 1                                            // v_accvgpr read vgpr after write vgpr: 2 wait states
ds_bpermute_b32 v5, v0, v5, offset:16              // permute edge values
s_waitcnt 0                                        // wait for swizzle operation
v_accvgpr_write_b32 acc42, v5                      // 
v_accvgpr_read_b32 v5, acc43                       // glvw 4 mb 1 tt1 11 r 0
s_nop 1                                            // v_accvgpr read vgpr after write vgpr: 2 wait states
ds_bpermute_b32 v5, v0, v5, offset:16              // permute edge values
s_waitcnt 0                                        // wait for swizzle operation
v_accvgpr_write_b32 acc43, v5                      // 
v_accvgpr_read_b32 v5, acc44                       // glvw 4 mb 1 tt1 12 r 0
s_nop 1                                            // v_accvgpr read vgpr after write vgpr: 2 wait states
ds_bpermute_b32 v5, v0, v5, offset:16              // permute edge values
s_waitcnt 0                                        // wait for swizzle operation
v_accvgpr_write_b32 acc44, v5                      // 
v_accvgpr_read_b32 v5, acc45                       // glvw 4 mb 1 tt1 13 r 0
s_nop 1                                            // v_accvgpr read vgpr after write vgpr: 2 wait states
ds_bpermute_b32 v5, v0, v5, offset:16              // permute edge values
s_waitcnt 0                                        // wait for swizzle operation
v_accvgpr_write_b32 acc45, v5                      // 
v_accvgpr_read_b32 v5, acc46                       // glvw 4 mb 1 tt1 14 r 0
s_nop 1                                            // v_accvgpr read vgpr after write vgpr: 2 wait states
ds_bpermute_b32 v5, v0, v5, offset:16              // permute edge values
s_waitcnt 0                                        // wait for swizzle operation
v_accvgpr_write_b32 acc46, v5                      // 
v_accvgpr_read_b32 v5, acc47                       // glvw 4 mb 1 tt1 15 r 0
s_nop 1                                            // v_accvgpr read vgpr after write vgpr: 2 wait states
ds_bpermute_b32 v5, v0, v5, offset:16              // permute edge values
s_waitcnt 0                                        // wait for swizzle operation
v_accvgpr_write_b32 acc47, v5                      // 
v_accvgpr_read_b32 v5, acc48                       // glvw 4 mb 1 tt1 16 r 0
s_nop 1                                            // v_accvgpr read vgpr after write vgpr: 2 wait states
ds_bpermute_b32 v5, v0, v5, offset:16              // permute edge values
s_waitcnt 0                                        // wait for swizzle operation
v_accvgpr_write_b32 acc48, v5                      // 
v_accvgpr_read_b32 v5, acc49                       // glvw 4 mb 1 tt1 17 r 0
s_nop 1                                            // v_accvgpr read vgpr after write vgpr: 2 wait states
ds_bpermute_b32 v5, v0, v5, offset:16              // permute edge values
s_waitcnt 0                                        // wait for swizzle operation
v_accvgpr_write_b32 acc49, v5                      // 
v_accvgpr_read_b32 v5, acc50                       // glvw 4 mb 1 tt1 18 r 0
s_nop 1                                            // v_accvgpr read vgpr after write vgpr: 2 wait states
ds_bpermute_b32 v5, v0, v5, offset:16              // permute edge values
s_waitcnt 0                                        // wait for swizzle operation
v_accvgpr_write_b32 acc50, v5                      // 
v_accvgpr_read_b32 v5, acc51                       // glvw 4 mb 1 tt1 19 r 0
s_nop 1                                            // v_accvgpr read vgpr after write vgpr: 2 wait states
ds_bpermute_b32 v5, v0, v5, offset:16              // permute edge values
s_waitcnt 0                                        // wait for swizzle operation
v_accvgpr_write_b32 acc51, v5                      // 
v_accvgpr_read_b32 v5, acc52                       // glvw 4 mb 1 tt1 20 r 0
s_nop 1                                            // v_accvgpr read vgpr after write vgpr: 2 wait states
ds_bpermute_b32 v5, v0, v5, offset:16              // permute edge values
s_waitcnt 0                                        // wait for swizzle operation
v_accvgpr_write_b32 acc52, v5                      // 
v_accvgpr_read_b32 v5, acc53                       // glvw 4 mb 1 tt1 21 r 0
s_nop 1                                            // v_accvgpr read vgpr after write vgpr: 2 wait states
ds_bpermute_b32 v5, v0, v5, offset:16              // permute edge values
s_waitcnt 0                                        // wait for swizzle operation
v_accvgpr_write_b32 acc53, v5                      // 
v_accvgpr_read_b32 v5, acc54                       // glvw 4 mb 1 tt1 22 r 0
s_nop 1                                            // v_accvgpr read vgpr after write vgpr: 2 wait states
ds_bpermute_b32 v5, v0, v5, offset:16              // permute edge values
s_waitcnt 0                                        // wait for swizzle operation
v_accvgpr_write_b32 acc54, v5                      // 
v_accvgpr_read_b32 v5, acc55                       // glvw 4 mb 1 tt1 23 r 0
s_nop 1                                            // v_accvgpr read vgpr after write vgpr: 2 wait states
ds_bpermute_b32 v5, v0, v5, offset:16              // permute edge values
s_waitcnt 0                                        // wait for swizzle operation
v_accvgpr_write_b32 acc55, v5                      // 
v_accvgpr_read_b32 v5, acc56                       // glvw 4 mb 1 tt1 24 r 0
s_nop 1                                            // v_accvgpr read vgpr after write vgpr: 2 wait states
ds_bpermute_b32 v5, v0, v5, offset:16              // permute edge values
s_waitcnt 0                                        // wait for swizzle operation
v_accvgpr_write_b32 acc56, v5                      // 
v_accvgpr_read_b32 v5, acc57                       // glvw 4 mb 1 tt1 25 r 0
s_nop 1                                            // v_accvgpr read vgpr after write vgpr: 2 wait states
ds_bpermute_b32 v5, v0, v5, offset:16              // permute edge values
s_waitcnt 0                                        // wait for swizzle operation
v_accvgpr_write_b32 acc57, v5                      // 
v_accvgpr_read_b32 v5, acc58                       // glvw 4 mb 1 tt1 26 r 0
s_nop 1                                            // v_accvgpr read vgpr after write vgpr: 2 wait states
ds_bpermute_b32 v5, v0, v5, offset:16              // permute edge values
s_waitcnt 0                                        // wait for swizzle operation
v_accvgpr_write_b32 acc58, v5                      // 
v_accvgpr_read_b32 v5, acc59                       // glvw 4 mb 1 tt1 27 r 0
s_nop 1                                            // v_accvgpr read vgpr after write vgpr: 2 wait states
ds_bpermute_b32 v5, v0, v5, offset:16              // permute edge values
s_waitcnt 0                                        // wait for swizzle operation
v_accvgpr_write_b32 acc59, v5                      // 
v_accvgpr_read_b32 v5, acc60                       // glvw 4 mb 1 tt1 28 r 0
s_nop 1                                            // v_accvgpr read vgpr after write vgpr: 2 wait states
ds_bpermute_b32 v5, v0, v5, offset:16              // permute edge values
s_waitcnt 0                                        // wait for swizzle operation
v_accvgpr_write_b32 acc60, v5                      // 
v_accvgpr_read_b32 v5, acc61                       // glvw 4 mb 1 tt1 29 r 0
s_nop 1                                            // v_accvgpr read vgpr after write vgpr: 2 wait states
ds_bpermute_b32 v5, v0, v5, offset:16              // permute edge values
s_waitcnt 0                                        // wait for swizzle operation
v_accvgpr_write_b32 acc61, v5                      // 
v_accvgpr_read_b32 v5, acc62                       // glvw 4 mb 1 tt1 30 r 0
s_nop 1                                            // v_accvgpr read vgpr after write vgpr: 2 wait states
ds_bpermute_b32 v5, v0, v5, offset:16              // permute edge values
s_waitcnt 0                                        // wait for swizzle operation
v_accvgpr_write_b32 acc62, v5                      // 
v_accvgpr_read_b32 v5, acc63                       // glvw 4 mb 1 tt1 31 r 0
s_nop 1                                            // v_accvgpr read vgpr after write vgpr: 2 wait states
ds_bpermute_b32 v5, v0, v5, offset:16              // permute edge values
s_waitcnt 0                                        // wait for swizzle operation
v_accvgpr_write_b32 acc63, v5                      // 
s_mov_b64 s[32:33], 0xFFFFFFFFFFFFFFFF             // to restore all threads active
s_or_saveexec_b64 vcc, s[32:33]                    // all threads active
s_branch label_0148                                // done shifting


/******************************************/
/* shift d1 r=4 mb=2 vw0                  */
/******************************************/
label_0086: // r4 mb2 vw0 
s_mov_b32 s32, 8                                   // 
_v_cmpx_eq_u32 s[32:33], v4, s32                   // is thread in edge glvw region
v_and_b32 v0, 63, v[vgprSerial]                    // permute register between threads
v_lshlrev_b32 v0, 2, v0                            // permute register between threads
v_accvgpr_read_b32 v5, acc64                       // glvw 4 mb 2 tt1 0 r 0
s_nop 1                                            // v_accvgpr read vgpr after write vgpr: 2 wait states
ds_bpermute_b32 v5, v0, v5, offset:16              // permute edge values
s_waitcnt 0                                        // wait for swizzle operation
v_accvgpr_write_b32 acc64, v5                      // 
v_accvgpr_read_b32 v5, acc65                       // glvw 4 mb 2 tt1 1 r 0
s_nop 1                                            // v_accvgpr read vgpr after write vgpr: 2 wait states
ds_bpermute_b32 v5, v0, v5, offset:16              // permute edge values
s_waitcnt 0                                        // wait for swizzle operation
v_accvgpr_write_b32 acc65, v5                      // 
v_accvgpr_read_b32 v5, acc66                       // glvw 4 mb 2 tt1 2 r 0
s_nop 1                                            // v_accvgpr read vgpr after write vgpr: 2 wait states
ds_bpermute_b32 v5, v0, v5, offset:16              // permute edge values
s_waitcnt 0                                        // wait for swizzle operation
v_accvgpr_write_b32 acc66, v5                      // 
v_accvgpr_read_b32 v5, acc67                       // glvw 4 mb 2 tt1 3 r 0
s_nop 1                                            // v_accvgpr read vgpr after write vgpr: 2 wait states
ds_bpermute_b32 v5, v0, v5, offset:16              // permute edge values
s_waitcnt 0                                        // wait for swizzle operation
v_accvgpr_write_b32 acc67, v5                      // 
v_accvgpr_read_b32 v5, acc68                       // glvw 4 mb 2 tt1 4 r 0
s_nop 1                                            // v_accvgpr read vgpr after write vgpr: 2 wait states
ds_bpermute_b32 v5, v0, v5, offset:16              // permute edge values
s_waitcnt 0                                        // wait for swizzle operation
v_accvgpr_write_b32 acc68, v5                      // 
v_accvgpr_read_b32 v5, acc69                       // glvw 4 mb 2 tt1 5 r 0
s_nop 1                                            // v_accvgpr read vgpr after write vgpr: 2 wait states
ds_bpermute_b32 v5, v0, v5, offset:16              // permute edge values
s_waitcnt 0                                        // wait for swizzle operation
v_accvgpr_write_b32 acc69, v5                      // 
v_accvgpr_read_b32 v5, acc70                       // glvw 4 mb 2 tt1 6 r 0
s_nop 1                                            // v_accvgpr read vgpr after write vgpr: 2 wait states
ds_bpermute_b32 v5, v0, v5, offset:16              // permute edge values
s_waitcnt 0                                        // wait for swizzle operation
v_accvgpr_write_b32 acc70, v5                      // 
v_accvgpr_read_b32 v5, acc71                       // glvw 4 mb 2 tt1 7 r 0
s_nop 1                                            // v_accvgpr read vgpr after write vgpr: 2 wait states
ds_bpermute_b32 v5, v0, v5, offset:16              // permute edge values
s_waitcnt 0                                        // wait for swizzle operation
v_accvgpr_write_b32 acc71, v5                      // 
v_accvgpr_read_b32 v5, acc72                       // glvw 4 mb 2 tt1 8 r 0
s_nop 1                                            // v_accvgpr read vgpr after write vgpr: 2 wait states
ds_bpermute_b32 v5, v0, v5, offset:16              // permute edge values
s_waitcnt 0                                        // wait for swizzle operation
v_accvgpr_write_b32 acc72, v5                      // 
v_accvgpr_read_b32 v5, acc73                       // glvw 4 mb 2 tt1 9 r 0
s_nop 1                                            // v_accvgpr read vgpr after write vgpr: 2 wait states
ds_bpermute_b32 v5, v0, v5, offset:16              // permute edge values
s_waitcnt 0                                        // wait for swizzle operation
v_accvgpr_write_b32 acc73, v5                      // 
v_accvgpr_read_b32 v5, acc74                       // glvw 4 mb 2 tt1 10 r 0
s_nop 1                                            // v_accvgpr read vgpr after write vgpr: 2 wait states
ds_bpermute_b32 v5, v0, v5, offset:16              // permute edge values
s_waitcnt 0                                        // wait for swizzle operation
v_accvgpr_write_b32 acc74, v5                      // 
v_accvgpr_read_b32 v5, acc75                       // glvw 4 mb 2 tt1 11 r 0
s_nop 1                                            // v_accvgpr read vgpr after write vgpr: 2 wait states
ds_bpermute_b32 v5, v0, v5, offset:16              // permute edge values
s_waitcnt 0                                        // wait for swizzle operation
v_accvgpr_write_b32 acc75, v5                      // 
v_accvgpr_read_b32 v5, acc76                       // glvw 4 mb 2 tt1 12 r 0
s_nop 1                                            // v_accvgpr read vgpr after write vgpr: 2 wait states
ds_bpermute_b32 v5, v0, v5, offset:16              // permute edge values
s_waitcnt 0                                        // wait for swizzle operation
v_accvgpr_write_b32 acc76, v5                      // 
v_accvgpr_read_b32 v5, acc77                       // glvw 4 mb 2 tt1 13 r 0
s_nop 1                                            // v_accvgpr read vgpr after write vgpr: 2 wait states
ds_bpermute_b32 v5, v0, v5, offset:16              // permute edge values
s_waitcnt 0                                        // wait for swizzle operation
v_accvgpr_write_b32 acc77, v5                      // 
v_accvgpr_read_b32 v5, acc78                       // glvw 4 mb 2 tt1 14 r 0
s_nop 1                                            // v_accvgpr read vgpr after write vgpr: 2 wait states
ds_bpermute_b32 v5, v0, v5, offset:16              // permute edge values
s_waitcnt 0                                        // wait for swizzle operation
v_accvgpr_write_b32 acc78, v5                      // 
v_accvgpr_read_b32 v5, acc79                       // glvw 4 mb 2 tt1 15 r 0
s_nop 1                                            // v_accvgpr read vgpr after write vgpr: 2 wait states
ds_bpermute_b32 v5, v0, v5, offset:16              // permute edge values
s_waitcnt 0                                        // wait for swizzle operation
v_accvgpr_write_b32 acc79, v5                      // 
v_accvgpr_read_b32 v5, acc80                       // glvw 4 mb 2 tt1 16 r 0
s_nop 1                                            // v_accvgpr read vgpr after write vgpr: 2 wait states
ds_bpermute_b32 v5, v0, v5, offset:16              // permute edge values
s_waitcnt 0                                        // wait for swizzle operation
v_accvgpr_write_b32 acc80, v5                      // 
v_accvgpr_read_b32 v5, acc81                       // glvw 4 mb 2 tt1 17 r 0
s_nop 1                                            // v_accvgpr read vgpr after write vgpr: 2 wait states
ds_bpermute_b32 v5, v0, v5, offset:16              // permute edge values
s_waitcnt 0                                        // wait for swizzle operation
v_accvgpr_write_b32 acc81, v5                      // 
v_accvgpr_read_b32 v5, acc82                       // glvw 4 mb 2 tt1 18 r 0
s_nop 1                                            // v_accvgpr read vgpr after write vgpr: 2 wait states
ds_bpermute_b32 v5, v0, v5, offset:16              // permute edge values
s_waitcnt 0                                        // wait for swizzle operation
v_accvgpr_write_b32 acc82, v5                      // 
v_accvgpr_read_b32 v5, acc83                       // glvw 4 mb 2 tt1 19 r 0
s_nop 1                                            // v_accvgpr read vgpr after write vgpr: 2 wait states
ds_bpermute_b32 v5, v0, v5, offset:16              // permute edge values
s_waitcnt 0                                        // wait for swizzle operation
v_accvgpr_write_b32 acc83, v5                      // 
v_accvgpr_read_b32 v5, acc84                       // glvw 4 mb 2 tt1 20 r 0
s_nop 1                                            // v_accvgpr read vgpr after write vgpr: 2 wait states
ds_bpermute_b32 v5, v0, v5, offset:16              // permute edge values
s_waitcnt 0                                        // wait for swizzle operation
v_accvgpr_write_b32 acc84, v5                      // 
v_accvgpr_read_b32 v5, acc85                       // glvw 4 mb 2 tt1 21 r 0
s_nop 1                                            // v_accvgpr read vgpr after write vgpr: 2 wait states
ds_bpermute_b32 v5, v0, v5, offset:16              // permute edge values
s_waitcnt 0                                        // wait for swizzle operation
v_accvgpr_write_b32 acc85, v5                      // 
v_accvgpr_read_b32 v5, acc86                       // glvw 4 mb 2 tt1 22 r 0
s_nop 1                                            // v_accvgpr read vgpr after write vgpr: 2 wait states
ds_bpermute_b32 v5, v0, v5, offset:16              // permute edge values
s_waitcnt 0                                        // wait for swizzle operation
v_accvgpr_write_b32 acc86, v5                      // 
v_accvgpr_read_b32 v5, acc87                       // glvw 4 mb 2 tt1 23 r 0
s_nop 1                                            // v_accvgpr read vgpr after write vgpr: 2 wait states
ds_bpermute_b32 v5, v0, v5, offset:16              // permute edge values
s_waitcnt 0                                        // wait for swizzle operation
v_accvgpr_write_b32 acc87, v5                      // 
v_accvgpr_read_b32 v5, acc88                       // glvw 4 mb 2 tt1 24 r 0
s_nop 1                                            // v_accvgpr read vgpr after write vgpr: 2 wait states
ds_bpermute_b32 v5, v0, v5, offset:16              // permute edge values
s_waitcnt 0                                        // wait for swizzle operation
v_accvgpr_write_b32 acc88, v5                      // 
v_accvgpr_read_b32 v5, acc89                       // glvw 4 mb 2 tt1 25 r 0
s_nop 1                                            // v_accvgpr read vgpr after write vgpr: 2 wait states
ds_bpermute_b32 v5, v0, v5, offset:16              // permute edge values
s_waitcnt 0                                        // wait for swizzle operation
v_accvgpr_write_b32 acc89, v5                      // 
v_accvgpr_read_b32 v5, acc90                       // glvw 4 mb 2 tt1 26 r 0
s_nop 1                                            // v_accvgpr read vgpr after write vgpr: 2 wait states
ds_bpermute_b32 v5, v0, v5, offset:16              // permute edge values
s_waitcnt 0                                        // wait for swizzle operation
v_accvgpr_write_b32 acc90, v5                      // 
v_accvgpr_read_b32 v5, acc91                       // glvw 4 mb 2 tt1 27 r 0
s_nop 1                                            // v_accvgpr read vgpr after write vgpr: 2 wait states
ds_bpermute_b32 v5, v0, v5, offset:16              // permute edge values
s_waitcnt 0                                        // wait for swizzle operation
v_accvgpr_write_b32 acc91, v5                      // 
v_accvgpr_read_b32 v5, acc92                       // glvw 4 mb 2 tt1 28 r 0
s_nop 1                                            // v_accvgpr read vgpr after write vgpr: 2 wait states
ds_bpermute_b32 v5, v0, v5, offset:16              // permute edge values
s_waitcnt 0                                        // wait for swizzle operation
v_accvgpr_write_b32 acc92, v5                      // 
v_accvgpr_read_b32 v5, acc93                       // glvw 4 mb 2 tt1 29 r 0
s_nop 1                                            // v_accvgpr read vgpr after write vgpr: 2 wait states
ds_bpermute_b32 v5, v0, v5, offset:16              // permute edge values
s_waitcnt 0                                        // wait for swizzle operation
v_accvgpr_write_b32 acc93, v5                      // 
v_accvgpr_read_b32 v5, acc94                       // glvw 4 mb 2 tt1 30 r 0
s_nop 1                                            // v_accvgpr read vgpr after write vgpr: 2 wait states
ds_bpermute_b32 v5, v0, v5, offset:16              // permute edge values
s_waitcnt 0                                        // wait for swizzle operation
v_accvgpr_write_b32 acc94, v5                      // 
v_accvgpr_read_b32 v5, acc95                       // glvw 4 mb 2 tt1 31 r 0
s_nop 1                                            // v_accvgpr read vgpr after write vgpr: 2 wait states
ds_bpermute_b32 v5, v0, v5, offset:16              // permute edge values
s_waitcnt 0                                        // wait for swizzle operation
v_accvgpr_write_b32 acc95, v5                      // 
s_mov_b64 s[32:33], 0xFFFFFFFFFFFFFFFF             // to restore all threads active
s_or_saveexec_b64 vcc, s[32:33]                    // all threads active
s_branch label_0148                                // done shifting


/******************************************/
/* shift d1 r=4 mb=3 vw0                  */
/******************************************/
label_0088: // r4 mb3 vw0 
s_mov_b32 s32, 12                                  // 
_v_cmpx_eq_u32 s[32:33], v4, s32                   // is thread in edge glvw region
v_and_b32 v0, 63, v[vgprSerial]                    // permute register between threads
v_lshlrev_b32 v0, 2, v0                            // permute register between threads
v_accvgpr_read_b32 v5, acc96                       // glvw 4 mb 3 tt1 0 r 0
s_nop 1                                            // v_accvgpr read vgpr after write vgpr: 2 wait states
ds_bpermute_b32 v5, v0, v5, offset:16              // permute edge values
s_waitcnt 0                                        // wait for swizzle operation
v_accvgpr_write_b32 acc96, v5                      // 
v_accvgpr_read_b32 v5, acc97                       // glvw 4 mb 3 tt1 1 r 0
s_nop 1                                            // v_accvgpr read vgpr after write vgpr: 2 wait states
ds_bpermute_b32 v5, v0, v5, offset:16              // permute edge values
s_waitcnt 0                                        // wait for swizzle operation
v_accvgpr_write_b32 acc97, v5                      // 
v_accvgpr_read_b32 v5, acc98                       // glvw 4 mb 3 tt1 2 r 0
s_nop 1                                            // v_accvgpr read vgpr after write vgpr: 2 wait states
ds_bpermute_b32 v5, v0, v5, offset:16              // permute edge values
s_waitcnt 0                                        // wait for swizzle operation
v_accvgpr_write_b32 acc98, v5                      // 
v_accvgpr_read_b32 v5, acc99                       // glvw 4 mb 3 tt1 3 r 0
s_nop 1                                            // v_accvgpr read vgpr after write vgpr: 2 wait states
ds_bpermute_b32 v5, v0, v5, offset:16              // permute edge values
s_waitcnt 0                                        // wait for swizzle operation
v_accvgpr_write_b32 acc99, v5                      // 
v_accvgpr_read_b32 v5, acc100                      // glvw 4 mb 3 tt1 4 r 0
s_nop 1                                            // v_accvgpr read vgpr after write vgpr: 2 wait states
ds_bpermute_b32 v5, v0, v5, offset:16              // permute edge values
s_waitcnt 0                                        // wait for swizzle operation
v_accvgpr_write_b32 acc100, v5                     // 
v_accvgpr_read_b32 v5, acc101                      // glvw 4 mb 3 tt1 5 r 0
s_nop 1                                            // v_accvgpr read vgpr after write vgpr: 2 wait states
ds_bpermute_b32 v5, v0, v5, offset:16              // permute edge values
s_waitcnt 0                                        // wait for swizzle operation
v_accvgpr_write_b32 acc101, v5                     // 
v_accvgpr_read_b32 v5, acc102                      // glvw 4 mb 3 tt1 6 r 0
s_nop 1                                            // v_accvgpr read vgpr after write vgpr: 2 wait states
ds_bpermute_b32 v5, v0, v5, offset:16              // permute edge values
s_waitcnt 0                                        // wait for swizzle operation
v_accvgpr_write_b32 acc102, v5                     // 
v_accvgpr_read_b32 v5, acc103                      // glvw 4 mb 3 tt1 7 r 0
s_nop 1                                            // v_accvgpr read vgpr after write vgpr: 2 wait states
ds_bpermute_b32 v5, v0, v5, offset:16              // permute edge values
s_waitcnt 0                                        // wait for swizzle operation
v_accvgpr_write_b32 acc103, v5                     // 
v_accvgpr_read_b32 v5, acc104                      // glvw 4 mb 3 tt1 8 r 0
s_nop 1                                            // v_accvgpr read vgpr after write vgpr: 2 wait states
ds_bpermute_b32 v5, v0, v5, offset:16              // permute edge values
s_waitcnt 0                                        // wait for swizzle operation
v_accvgpr_write_b32 acc104, v5                     // 
v_accvgpr_read_b32 v5, acc105                      // glvw 4 mb 3 tt1 9 r 0
s_nop 1                                            // v_accvgpr read vgpr after write vgpr: 2 wait states
ds_bpermute_b32 v5, v0, v5, offset:16              // permute edge values
s_waitcnt 0                                        // wait for swizzle operation
v_accvgpr_write_b32 acc105, v5                     // 
v_accvgpr_read_b32 v5, acc106                      // glvw 4 mb 3 tt1 10 r 0
s_nop 1                                            // v_accvgpr read vgpr after write vgpr: 2 wait states
ds_bpermute_b32 v5, v0, v5, offset:16              // permute edge values
s_waitcnt 0                                        // wait for swizzle operation
v_accvgpr_write_b32 acc106, v5                     // 
v_accvgpr_read_b32 v5, acc107                      // glvw 4 mb 3 tt1 11 r 0
s_nop 1                                            // v_accvgpr read vgpr after write vgpr: 2 wait states
ds_bpermute_b32 v5, v0, v5, offset:16              // permute edge values
s_waitcnt 0                                        // wait for swizzle operation
v_accvgpr_write_b32 acc107, v5                     // 
v_accvgpr_read_b32 v5, acc108                      // glvw 4 mb 3 tt1 12 r 0
s_nop 1                                            // v_accvgpr read vgpr after write vgpr: 2 wait states
ds_bpermute_b32 v5, v0, v5, offset:16              // permute edge values
s_waitcnt 0                                        // wait for swizzle operation
v_accvgpr_write_b32 acc108, v5                     // 
v_accvgpr_read_b32 v5, acc109                      // glvw 4 mb 3 tt1 13 r 0
s_nop 1                                            // v_accvgpr read vgpr after write vgpr: 2 wait states
ds_bpermute_b32 v5, v0, v5, offset:16              // permute edge values
s_waitcnt 0                                        // wait for swizzle operation
v_accvgpr_write_b32 acc109, v5                     // 
v_accvgpr_read_b32 v5, acc110                      // glvw 4 mb 3 tt1 14 r 0
s_nop 1                                            // v_accvgpr read vgpr after write vgpr: 2 wait states
ds_bpermute_b32 v5, v0, v5, offset:16              // permute edge values
s_waitcnt 0                                        // wait for swizzle operation
v_accvgpr_write_b32 acc110, v5                     // 
v_accvgpr_read_b32 v5, acc111                      // glvw 4 mb 3 tt1 15 r 0
s_nop 1                                            // v_accvgpr read vgpr after write vgpr: 2 wait states
ds_bpermute_b32 v5, v0, v5, offset:16              // permute edge values
s_waitcnt 0                                        // wait for swizzle operation
v_accvgpr_write_b32 acc111, v5                     // 
v_accvgpr_read_b32 v5, acc112                      // glvw 4 mb 3 tt1 16 r 0
s_nop 1                                            // v_accvgpr read vgpr after write vgpr: 2 wait states
ds_bpermute_b32 v5, v0, v5, offset:16              // permute edge values
s_waitcnt 0                                        // wait for swizzle operation
v_accvgpr_write_b32 acc112, v5                     // 
v_accvgpr_read_b32 v5, acc113                      // glvw 4 mb 3 tt1 17 r 0
s_nop 1                                            // v_accvgpr read vgpr after write vgpr: 2 wait states
ds_bpermute_b32 v5, v0, v5, offset:16              // permute edge values
s_waitcnt 0                                        // wait for swizzle operation
v_accvgpr_write_b32 acc113, v5                     // 
v_accvgpr_read_b32 v5, acc114                      // glvw 4 mb 3 tt1 18 r 0
s_nop 1                                            // v_accvgpr read vgpr after write vgpr: 2 wait states
ds_bpermute_b32 v5, v0, v5, offset:16              // permute edge values
s_waitcnt 0                                        // wait for swizzle operation
v_accvgpr_write_b32 acc114, v5                     // 
v_accvgpr_read_b32 v5, acc115                      // glvw 4 mb 3 tt1 19 r 0
s_nop 1                                            // v_accvgpr read vgpr after write vgpr: 2 wait states
ds_bpermute_b32 v5, v0, v5, offset:16              // permute edge values
s_waitcnt 0                                        // wait for swizzle operation
v_accvgpr_write_b32 acc115, v5                     // 
v_accvgpr_read_b32 v5, acc116                      // glvw 4 mb 3 tt1 20 r 0
s_nop 1                                            // v_accvgpr read vgpr after write vgpr: 2 wait states
ds_bpermute_b32 v5, v0, v5, offset:16              // permute edge values
s_waitcnt 0                                        // wait for swizzle operation
v_accvgpr_write_b32 acc116, v5                     // 
v_accvgpr_read_b32 v5, acc117                      // glvw 4 mb 3 tt1 21 r 0
s_nop 1                                            // v_accvgpr read vgpr after write vgpr: 2 wait states
ds_bpermute_b32 v5, v0, v5, offset:16              // permute edge values
s_waitcnt 0                                        // wait for swizzle operation
v_accvgpr_write_b32 acc117, v5                     // 
v_accvgpr_read_b32 v5, acc118                      // glvw 4 mb 3 tt1 22 r 0
s_nop 1                                            // v_accvgpr read vgpr after write vgpr: 2 wait states
ds_bpermute_b32 v5, v0, v5, offset:16              // permute edge values
s_waitcnt 0                                        // wait for swizzle operation
v_accvgpr_write_b32 acc118, v5                     // 
v_accvgpr_read_b32 v5, acc119                      // glvw 4 mb 3 tt1 23 r 0
s_nop 1                                            // v_accvgpr read vgpr after write vgpr: 2 wait states
ds_bpermute_b32 v5, v0, v5, offset:16              // permute edge values
s_waitcnt 0                                        // wait for swizzle operation
v_accvgpr_write_b32 acc119, v5                     // 
v_accvgpr_read_b32 v5, acc120                      // glvw 4 mb 3 tt1 24 r 0
s_nop 1                                            // v_accvgpr read vgpr after write vgpr: 2 wait states
ds_bpermute_b32 v5, v0, v5, offset:16              // permute edge values
s_waitcnt 0                                        // wait for swizzle operation
v_accvgpr_write_b32 acc120, v5                     // 
v_accvgpr_read_b32 v5, acc121                      // glvw 4 mb 3 tt1 25 r 0
s_nop 1                                            // v_accvgpr read vgpr after write vgpr: 2 wait states
ds_bpermute_b32 v5, v0, v5, offset:16              // permute edge values
s_waitcnt 0                                        // wait for swizzle operation
v_accvgpr_write_b32 acc121, v5                     // 
v_accvgpr_read_b32 v5, acc122                      // glvw 4 mb 3 tt1 26 r 0
s_nop 1                                            // v_accvgpr read vgpr after write vgpr: 2 wait states
ds_bpermute_b32 v5, v0, v5, offset:16              // permute edge values
s_waitcnt 0                                        // wait for swizzle operation
v_accvgpr_write_b32 acc122, v5                     // 
v_accvgpr_read_b32 v5, acc123                      // glvw 4 mb 3 tt1 27 r 0
s_nop 1                                            // v_accvgpr read vgpr after write vgpr: 2 wait states
ds_bpermute_b32 v5, v0, v5, offset:16              // permute edge values
s_waitcnt 0                                        // wait for swizzle operation
v_accvgpr_write_b32 acc123, v5                     // 
v_accvgpr_read_b32 v5, acc124                      // glvw 4 mb 3 tt1 28 r 0
s_nop 1                                            // v_accvgpr read vgpr after write vgpr: 2 wait states
ds_bpermute_b32 v5, v0, v5, offset:16              // permute edge values
s_waitcnt 0                                        // wait for swizzle operation
v_accvgpr_write_b32 acc124, v5                     // 
v_accvgpr_read_b32 v5, acc125                      // glvw 4 mb 3 tt1 29 r 0
s_nop 1                                            // v_accvgpr read vgpr after write vgpr: 2 wait states
ds_bpermute_b32 v5, v0, v5, offset:16              // permute edge values
s_waitcnt 0                                        // wait for swizzle operation
v_accvgpr_write_b32 acc125, v5                     // 
v_accvgpr_read_b32 v5, acc126                      // glvw 4 mb 3 tt1 30 r 0
s_nop 1                                            // v_accvgpr read vgpr after write vgpr: 2 wait states
ds_bpermute_b32 v5, v0, v5, offset:16              // permute edge values
s_waitcnt 0                                        // wait for swizzle operation
v_accvgpr_write_b32 acc126, v5                     // 
v_accvgpr_read_b32 v5, acc127                      // glvw 4 mb 3 tt1 31 r 0
s_nop 1                                            // v_accvgpr read vgpr after write vgpr: 2 wait states
ds_bpermute_b32 v5, v0, v5, offset:16              // permute edge values
s_waitcnt 0                                        // wait for swizzle operation
v_accvgpr_write_b32 acc127, v5                     // 
s_mov_b64 s[32:33], 0xFFFFFFFFFFFFFFFF             // to restore all threads active
s_or_saveexec_b64 vcc, s[32:33]                    // all threads active
s_branch label_0148                                // done shifting


/******************************************/
/* shift d1 r=4 mb=4 vw0                  */
/******************************************/
label_0090: // r4 mb4 vw0 
s_mov_b32 s32, 16                                  // 
_v_cmpx_eq_u32 s[32:33], v4, s32                   // is thread in edge glvw region
v_and_b32 v0, 63, v[vgprSerial]                    // permute register between threads
v_lshlrev_b32 v0, 2, v0                            // permute register between threads
v_accvgpr_read_b32 v5, acc128                      // glvw 4 mb 4 tt1 0 r 0
s_nop 1                                            // v_accvgpr read vgpr after write vgpr: 2 wait states
ds_bpermute_b32 v5, v0, v5, offset:16              // permute edge values
s_waitcnt 0                                        // wait for swizzle operation
v_accvgpr_write_b32 acc128, v5                     // 
v_accvgpr_read_b32 v5, acc129                      // glvw 4 mb 4 tt1 1 r 0
s_nop 1                                            // v_accvgpr read vgpr after write vgpr: 2 wait states
ds_bpermute_b32 v5, v0, v5, offset:16              // permute edge values
s_waitcnt 0                                        // wait for swizzle operation
v_accvgpr_write_b32 acc129, v5                     // 
v_accvgpr_read_b32 v5, acc130                      // glvw 4 mb 4 tt1 2 r 0
s_nop 1                                            // v_accvgpr read vgpr after write vgpr: 2 wait states
ds_bpermute_b32 v5, v0, v5, offset:16              // permute edge values
s_waitcnt 0                                        // wait for swizzle operation
v_accvgpr_write_b32 acc130, v5                     // 
v_accvgpr_read_b32 v5, acc131                      // glvw 4 mb 4 tt1 3 r 0
s_nop 1                                            // v_accvgpr read vgpr after write vgpr: 2 wait states
ds_bpermute_b32 v5, v0, v5, offset:16              // permute edge values
s_waitcnt 0                                        // wait for swizzle operation
v_accvgpr_write_b32 acc131, v5                     // 
v_accvgpr_read_b32 v5, acc132                      // glvw 4 mb 4 tt1 4 r 0
s_nop 1                                            // v_accvgpr read vgpr after write vgpr: 2 wait states
ds_bpermute_b32 v5, v0, v5, offset:16              // permute edge values
s_waitcnt 0                                        // wait for swizzle operation
v_accvgpr_write_b32 acc132, v5                     // 
v_accvgpr_read_b32 v5, acc133                      // glvw 4 mb 4 tt1 5 r 0
s_nop 1                                            // v_accvgpr read vgpr after write vgpr: 2 wait states
ds_bpermute_b32 v5, v0, v5, offset:16              // permute edge values
s_waitcnt 0                                        // wait for swizzle operation
v_accvgpr_write_b32 acc133, v5                     // 
v_accvgpr_read_b32 v5, acc134                      // glvw 4 mb 4 tt1 6 r 0
s_nop 1                                            // v_accvgpr read vgpr after write vgpr: 2 wait states
ds_bpermute_b32 v5, v0, v5, offset:16              // permute edge values
s_waitcnt 0                                        // wait for swizzle operation
v_accvgpr_write_b32 acc134, v5                     // 
v_accvgpr_read_b32 v5, acc135                      // glvw 4 mb 4 tt1 7 r 0
s_nop 1                                            // v_accvgpr read vgpr after write vgpr: 2 wait states
ds_bpermute_b32 v5, v0, v5, offset:16              // permute edge values
s_waitcnt 0                                        // wait for swizzle operation
v_accvgpr_write_b32 acc135, v5                     // 
v_accvgpr_read_b32 v5, acc136                      // glvw 4 mb 4 tt1 8 r 0
s_nop 1                                            // v_accvgpr read vgpr after write vgpr: 2 wait states
ds_bpermute_b32 v5, v0, v5, offset:16              // permute edge values
s_waitcnt 0                                        // wait for swizzle operation
v_accvgpr_write_b32 acc136, v5                     // 
v_accvgpr_read_b32 v5, acc137                      // glvw 4 mb 4 tt1 9 r 0
s_nop 1                                            // v_accvgpr read vgpr after write vgpr: 2 wait states
ds_bpermute_b32 v5, v0, v5, offset:16              // permute edge values
s_waitcnt 0                                        // wait for swizzle operation
v_accvgpr_write_b32 acc137, v5                     // 
v_accvgpr_read_b32 v5, acc138                      // glvw 4 mb 4 tt1 10 r 0
s_nop 1                                            // v_accvgpr read vgpr after write vgpr: 2 wait states
ds_bpermute_b32 v5, v0, v5, offset:16              // permute edge values
s_waitcnt 0                                        // wait for swizzle operation
v_accvgpr_write_b32 acc138, v5                     // 
v_accvgpr_read_b32 v5, acc139                      // glvw 4 mb 4 tt1 11 r 0
s_nop 1                                            // v_accvgpr read vgpr after write vgpr: 2 wait states
ds_bpermute_b32 v5, v0, v5, offset:16              // permute edge values
s_waitcnt 0                                        // wait for swizzle operation
v_accvgpr_write_b32 acc139, v5                     // 
v_accvgpr_read_b32 v5, acc140                      // glvw 4 mb 4 tt1 12 r 0
s_nop 1                                            // v_accvgpr read vgpr after write vgpr: 2 wait states
ds_bpermute_b32 v5, v0, v5, offset:16              // permute edge values
s_waitcnt 0                                        // wait for swizzle operation
v_accvgpr_write_b32 acc140, v5                     // 
v_accvgpr_read_b32 v5, acc141                      // glvw 4 mb 4 tt1 13 r 0
s_nop 1                                            // v_accvgpr read vgpr after write vgpr: 2 wait states
ds_bpermute_b32 v5, v0, v5, offset:16              // permute edge values
s_waitcnt 0                                        // wait for swizzle operation
v_accvgpr_write_b32 acc141, v5                     // 
v_accvgpr_read_b32 v5, acc142                      // glvw 4 mb 4 tt1 14 r 0
s_nop 1                                            // v_accvgpr read vgpr after write vgpr: 2 wait states
ds_bpermute_b32 v5, v0, v5, offset:16              // permute edge values
s_waitcnt 0                                        // wait for swizzle operation
v_accvgpr_write_b32 acc142, v5                     // 
v_accvgpr_read_b32 v5, acc143                      // glvw 4 mb 4 tt1 15 r 0
s_nop 1                                            // v_accvgpr read vgpr after write vgpr: 2 wait states
ds_bpermute_b32 v5, v0, v5, offset:16              // permute edge values
s_waitcnt 0                                        // wait for swizzle operation
v_accvgpr_write_b32 acc143, v5                     // 
v_accvgpr_read_b32 v5, acc144                      // glvw 4 mb 4 tt1 16 r 0
s_nop 1                                            // v_accvgpr read vgpr after write vgpr: 2 wait states
ds_bpermute_b32 v5, v0, v5, offset:16              // permute edge values
s_waitcnt 0                                        // wait for swizzle operation
v_accvgpr_write_b32 acc144, v5                     // 
v_accvgpr_read_b32 v5, acc145                      // glvw 4 mb 4 tt1 17 r 0
s_nop 1                                            // v_accvgpr read vgpr after write vgpr: 2 wait states
ds_bpermute_b32 v5, v0, v5, offset:16              // permute edge values
s_waitcnt 0                                        // wait for swizzle operation
v_accvgpr_write_b32 acc145, v5                     // 
v_accvgpr_read_b32 v5, acc146                      // glvw 4 mb 4 tt1 18 r 0
s_nop 1                                            // v_accvgpr read vgpr after write vgpr: 2 wait states
ds_bpermute_b32 v5, v0, v5, offset:16              // permute edge values
s_waitcnt 0                                        // wait for swizzle operation
v_accvgpr_write_b32 acc146, v5                     // 
v_accvgpr_read_b32 v5, acc147                      // glvw 4 mb 4 tt1 19 r 0
s_nop 1                                            // v_accvgpr read vgpr after write vgpr: 2 wait states
ds_bpermute_b32 v5, v0, v5, offset:16              // permute edge values
s_waitcnt 0                                        // wait for swizzle operation
v_accvgpr_write_b32 acc147, v5                     // 
v_accvgpr_read_b32 v5, acc148                      // glvw 4 mb 4 tt1 20 r 0
s_nop 1                                            // v_accvgpr read vgpr after write vgpr: 2 wait states
ds_bpermute_b32 v5, v0, v5, offset:16              // permute edge values
s_waitcnt 0                                        // wait for swizzle operation
v_accvgpr_write_b32 acc148, v5                     // 
v_accvgpr_read_b32 v5, acc149                      // glvw 4 mb 4 tt1 21 r 0
s_nop 1                                            // v_accvgpr read vgpr after write vgpr: 2 wait states
ds_bpermute_b32 v5, v0, v5, offset:16              // permute edge values
s_waitcnt 0                                        // wait for swizzle operation
v_accvgpr_write_b32 acc149, v5                     // 
v_accvgpr_read_b32 v5, acc150                      // glvw 4 mb 4 tt1 22 r 0
s_nop 1                                            // v_accvgpr read vgpr after write vgpr: 2 wait states
ds_bpermute_b32 v5, v0, v5, offset:16              // permute edge values
s_waitcnt 0                                        // wait for swizzle operation
v_accvgpr_write_b32 acc150, v5                     // 
v_accvgpr_read_b32 v5, acc151                      // glvw 4 mb 4 tt1 23 r 0
s_nop 1                                            // v_accvgpr read vgpr after write vgpr: 2 wait states
ds_bpermute_b32 v5, v0, v5, offset:16              // permute edge values
s_waitcnt 0                                        // wait for swizzle operation
v_accvgpr_write_b32 acc151, v5                     // 
v_accvgpr_read_b32 v5, acc152                      // glvw 4 mb 4 tt1 24 r 0
s_nop 1                                            // v_accvgpr read vgpr after write vgpr: 2 wait states
ds_bpermute_b32 v5, v0, v5, offset:16              // permute edge values
s_waitcnt 0                                        // wait for swizzle operation
v_accvgpr_write_b32 acc152, v5                     // 
v_accvgpr_read_b32 v5, acc153                      // glvw 4 mb 4 tt1 25 r 0
s_nop 1                                            // v_accvgpr read vgpr after write vgpr: 2 wait states
ds_bpermute_b32 v5, v0, v5, offset:16              // permute edge values
s_waitcnt 0                                        // wait for swizzle operation
v_accvgpr_write_b32 acc153, v5                     // 
v_accvgpr_read_b32 v5, acc154                      // glvw 4 mb 4 tt1 26 r 0
s_nop 1                                            // v_accvgpr read vgpr after write vgpr: 2 wait states
ds_bpermute_b32 v5, v0, v5, offset:16              // permute edge values
s_waitcnt 0                                        // wait for swizzle operation
v_accvgpr_write_b32 acc154, v5                     // 
v_accvgpr_read_b32 v5, acc155                      // glvw 4 mb 4 tt1 27 r 0
s_nop 1                                            // v_accvgpr read vgpr after write vgpr: 2 wait states
ds_bpermute_b32 v5, v0, v5, offset:16              // permute edge values
s_waitcnt 0                                        // wait for swizzle operation
v_accvgpr_write_b32 acc155, v5                     // 
v_accvgpr_read_b32 v5, acc156                      // glvw 4 mb 4 tt1 28 r 0
s_nop 1                                            // v_accvgpr read vgpr after write vgpr: 2 wait states
ds_bpermute_b32 v5, v0, v5, offset:16              // permute edge values
s_waitcnt 0                                        // wait for swizzle operation
v_accvgpr_write_b32 acc156, v5                     // 
v_accvgpr_read_b32 v5, acc157                      // glvw 4 mb 4 tt1 29 r 0
s_nop 1                                            // v_accvgpr read vgpr after write vgpr: 2 wait states
ds_bpermute_b32 v5, v0, v5, offset:16              // permute edge values
s_waitcnt 0                                        // wait for swizzle operation
v_accvgpr_write_b32 acc157, v5                     // 
v_accvgpr_read_b32 v5, acc158                      // glvw 4 mb 4 tt1 30 r 0
s_nop 1                                            // v_accvgpr read vgpr after write vgpr: 2 wait states
ds_bpermute_b32 v5, v0, v5, offset:16              // permute edge values
s_waitcnt 0                                        // wait for swizzle operation
v_accvgpr_write_b32 acc158, v5                     // 
v_accvgpr_read_b32 v5, acc159                      // glvw 4 mb 4 tt1 31 r 0
s_nop 1                                            // v_accvgpr read vgpr after write vgpr: 2 wait states
ds_bpermute_b32 v5, v0, v5, offset:16              // permute edge values
s_waitcnt 0                                        // wait for swizzle operation
v_accvgpr_write_b32 acc159, v5                     // 
s_mov_b64 s[32:33], 0xFFFFFFFFFFFFFFFF             // to restore all threads active
s_or_saveexec_b64 vcc, s[32:33]                    // all threads active
s_branch label_0148                                // done shifting


/******************************************/
/* shift d1 r=4 mb=5 vw0                  */
/******************************************/
label_0092: // r4 mb5 vw0 
s_mov_b32 s32, 20                                  // 
_v_cmpx_eq_u32 s[32:33], v4, s32                   // is thread in edge glvw region
v_and_b32 v0, 63, v[vgprSerial]                    // permute register between threads
v_lshlrev_b32 v0, 2, v0                            // permute register between threads
v_accvgpr_read_b32 v5, acc160                      // glvw 4 mb 5 tt1 0 r 0
s_nop 1                                            // v_accvgpr read vgpr after write vgpr: 2 wait states
ds_bpermute_b32 v5, v0, v5, offset:16              // permute edge values
s_waitcnt 0                                        // wait for swizzle operation
v_accvgpr_write_b32 acc160, v5                     // 
v_accvgpr_read_b32 v5, acc161                      // glvw 4 mb 5 tt1 1 r 0
s_nop 1                                            // v_accvgpr read vgpr after write vgpr: 2 wait states
ds_bpermute_b32 v5, v0, v5, offset:16              // permute edge values
s_waitcnt 0                                        // wait for swizzle operation
v_accvgpr_write_b32 acc161, v5                     // 
v_accvgpr_read_b32 v5, acc162                      // glvw 4 mb 5 tt1 2 r 0
s_nop 1                                            // v_accvgpr read vgpr after write vgpr: 2 wait states
ds_bpermute_b32 v5, v0, v5, offset:16              // permute edge values
s_waitcnt 0                                        // wait for swizzle operation
v_accvgpr_write_b32 acc162, v5                     // 
v_accvgpr_read_b32 v5, acc163                      // glvw 4 mb 5 tt1 3 r 0
s_nop 1                                            // v_accvgpr read vgpr after write vgpr: 2 wait states
ds_bpermute_b32 v5, v0, v5, offset:16              // permute edge values
s_waitcnt 0                                        // wait for swizzle operation
v_accvgpr_write_b32 acc163, v5                     // 
v_accvgpr_read_b32 v5, acc164                      // glvw 4 mb 5 tt1 4 r 0
s_nop 1                                            // v_accvgpr read vgpr after write vgpr: 2 wait states
ds_bpermute_b32 v5, v0, v5, offset:16              // permute edge values
s_waitcnt 0                                        // wait for swizzle operation
v_accvgpr_write_b32 acc164, v5                     // 
v_accvgpr_read_b32 v5, acc165                      // glvw 4 mb 5 tt1 5 r 0
s_nop 1                                            // v_accvgpr read vgpr after write vgpr: 2 wait states
ds_bpermute_b32 v5, v0, v5, offset:16              // permute edge values
s_waitcnt 0                                        // wait for swizzle operation
v_accvgpr_write_b32 acc165, v5                     // 
v_accvgpr_read_b32 v5, acc166                      // glvw 4 mb 5 tt1 6 r 0
s_nop 1                                            // v_accvgpr read vgpr after write vgpr: 2 wait states
ds_bpermute_b32 v5, v0, v5, offset:16              // permute edge values
s_waitcnt 0                                        // wait for swizzle operation
v_accvgpr_write_b32 acc166, v5                     // 
v_accvgpr_read_b32 v5, acc167                      // glvw 4 mb 5 tt1 7 r 0
s_nop 1                                            // v_accvgpr read vgpr after write vgpr: 2 wait states
ds_bpermute_b32 v5, v0, v5, offset:16              // permute edge values
s_waitcnt 0                                        // wait for swizzle operation
v_accvgpr_write_b32 acc167, v5                     // 
v_accvgpr_read_b32 v5, acc168                      // glvw 4 mb 5 tt1 8 r 0
s_nop 1                                            // v_accvgpr read vgpr after write vgpr: 2 wait states
ds_bpermute_b32 v5, v0, v5, offset:16              // permute edge values
s_waitcnt 0                                        // wait for swizzle operation
v_accvgpr_write_b32 acc168, v5                     // 
v_accvgpr_read_b32 v5, acc169                      // glvw 4 mb 5 tt1 9 r 0
s_nop 1                                            // v_accvgpr read vgpr after write vgpr: 2 wait states
ds_bpermute_b32 v5, v0, v5, offset:16              // permute edge values
s_waitcnt 0                                        // wait for swizzle operation
v_accvgpr_write_b32 acc169, v5                     // 
v_accvgpr_read_b32 v5, acc170                      // glvw 4 mb 5 tt1 10 r 0
s_nop 1                                            // v_accvgpr read vgpr after write vgpr: 2 wait states
ds_bpermute_b32 v5, v0, v5, offset:16              // permute edge values
s_waitcnt 0                                        // wait for swizzle operation
v_accvgpr_write_b32 acc170, v5                     // 
v_accvgpr_read_b32 v5, acc171                      // glvw 4 mb 5 tt1 11 r 0
s_nop 1                                            // v_accvgpr read vgpr after write vgpr: 2 wait states
ds_bpermute_b32 v5, v0, v5, offset:16              // permute edge values
s_waitcnt 0                                        // wait for swizzle operation
v_accvgpr_write_b32 acc171, v5                     // 
v_accvgpr_read_b32 v5, acc172                      // glvw 4 mb 5 tt1 12 r 0
s_nop 1                                            // v_accvgpr read vgpr after write vgpr: 2 wait states
ds_bpermute_b32 v5, v0, v5, offset:16              // permute edge values
s_waitcnt 0                                        // wait for swizzle operation
v_accvgpr_write_b32 acc172, v5                     // 
v_accvgpr_read_b32 v5, acc173                      // glvw 4 mb 5 tt1 13 r 0
s_nop 1                                            // v_accvgpr read vgpr after write vgpr: 2 wait states
ds_bpermute_b32 v5, v0, v5, offset:16              // permute edge values
s_waitcnt 0                                        // wait for swizzle operation
v_accvgpr_write_b32 acc173, v5                     // 
v_accvgpr_read_b32 v5, acc174                      // glvw 4 mb 5 tt1 14 r 0
s_nop 1                                            // v_accvgpr read vgpr after write vgpr: 2 wait states
ds_bpermute_b32 v5, v0, v5, offset:16              // permute edge values
s_waitcnt 0                                        // wait for swizzle operation
v_accvgpr_write_b32 acc174, v5                     // 
v_accvgpr_read_b32 v5, acc175                      // glvw 4 mb 5 tt1 15 r 0
s_nop 1                                            // v_accvgpr read vgpr after write vgpr: 2 wait states
ds_bpermute_b32 v5, v0, v5, offset:16              // permute edge values
s_waitcnt 0                                        // wait for swizzle operation
v_accvgpr_write_b32 acc175, v5                     // 
v_accvgpr_read_b32 v5, acc176                      // glvw 4 mb 5 tt1 16 r 0
s_nop 1                                            // v_accvgpr read vgpr after write vgpr: 2 wait states
ds_bpermute_b32 v5, v0, v5, offset:16              // permute edge values
s_waitcnt 0                                        // wait for swizzle operation
v_accvgpr_write_b32 acc176, v5                     // 
v_accvgpr_read_b32 v5, acc177                      // glvw 4 mb 5 tt1 17 r 0
s_nop 1                                            // v_accvgpr read vgpr after write vgpr: 2 wait states
ds_bpermute_b32 v5, v0, v5, offset:16              // permute edge values
s_waitcnt 0                                        // wait for swizzle operation
v_accvgpr_write_b32 acc177, v5                     // 
v_accvgpr_read_b32 v5, acc178                      // glvw 4 mb 5 tt1 18 r 0
s_nop 1                                            // v_accvgpr read vgpr after write vgpr: 2 wait states
ds_bpermute_b32 v5, v0, v5, offset:16              // permute edge values
s_waitcnt 0                                        // wait for swizzle operation
v_accvgpr_write_b32 acc178, v5                     // 
v_accvgpr_read_b32 v5, acc179                      // glvw 4 mb 5 tt1 19 r 0
s_nop 1                                            // v_accvgpr read vgpr after write vgpr: 2 wait states
ds_bpermute_b32 v5, v0, v5, offset:16              // permute edge values
s_waitcnt 0                                        // wait for swizzle operation
v_accvgpr_write_b32 acc179, v5                     // 
v_accvgpr_read_b32 v5, acc180                      // glvw 4 mb 5 tt1 20 r 0
s_nop 1                                            // v_accvgpr read vgpr after write vgpr: 2 wait states
ds_bpermute_b32 v5, v0, v5, offset:16              // permute edge values
s_waitcnt 0                                        // wait for swizzle operation
v_accvgpr_write_b32 acc180, v5                     // 
v_accvgpr_read_b32 v5, acc181                      // glvw 4 mb 5 tt1 21 r 0
s_nop 1                                            // v_accvgpr read vgpr after write vgpr: 2 wait states
ds_bpermute_b32 v5, v0, v5, offset:16              // permute edge values
s_waitcnt 0                                        // wait for swizzle operation
v_accvgpr_write_b32 acc181, v5                     // 
v_accvgpr_read_b32 v5, acc182                      // glvw 4 mb 5 tt1 22 r 0
s_nop 1                                            // v_accvgpr read vgpr after write vgpr: 2 wait states
ds_bpermute_b32 v5, v0, v5, offset:16              // permute edge values
s_waitcnt 0                                        // wait for swizzle operation
v_accvgpr_write_b32 acc182, v5                     // 
v_accvgpr_read_b32 v5, acc183                      // glvw 4 mb 5 tt1 23 r 0
s_nop 1                                            // v_accvgpr read vgpr after write vgpr: 2 wait states
ds_bpermute_b32 v5, v0, v5, offset:16              // permute edge values
s_waitcnt 0                                        // wait for swizzle operation
v_accvgpr_write_b32 acc183, v5                     // 
v_accvgpr_read_b32 v5, acc184                      // glvw 4 mb 5 tt1 24 r 0
s_nop 1                                            // v_accvgpr read vgpr after write vgpr: 2 wait states
ds_bpermute_b32 v5, v0, v5, offset:16              // permute edge values
s_waitcnt 0                                        // wait for swizzle operation
v_accvgpr_write_b32 acc184, v5                     // 
v_accvgpr_read_b32 v5, acc185                      // glvw 4 mb 5 tt1 25 r 0
s_nop 1                                            // v_accvgpr read vgpr after write vgpr: 2 wait states
ds_bpermute_b32 v5, v0, v5, offset:16              // permute edge values
s_waitcnt 0                                        // wait for swizzle operation
v_accvgpr_write_b32 acc185, v5                     // 
v_accvgpr_read_b32 v5, acc186                      // glvw 4 mb 5 tt1 26 r 0
s_nop 1                                            // v_accvgpr read vgpr after write vgpr: 2 wait states
ds_bpermute_b32 v5, v0, v5, offset:16              // permute edge values
s_waitcnt 0                                        // wait for swizzle operation
v_accvgpr_write_b32 acc186, v5                     // 
v_accvgpr_read_b32 v5, acc187                      // glvw 4 mb 5 tt1 27 r 0
s_nop 1                                            // v_accvgpr read vgpr after write vgpr: 2 wait states
ds_bpermute_b32 v5, v0, v5, offset:16              // permute edge values
s_waitcnt 0                                        // wait for swizzle operation
v_accvgpr_write_b32 acc187, v5                     // 
v_accvgpr_read_b32 v5, acc188                      // glvw 4 mb 5 tt1 28 r 0
s_nop 1                                            // v_accvgpr read vgpr after write vgpr: 2 wait states
ds_bpermute_b32 v5, v0, v5, offset:16              // permute edge values
s_waitcnt 0                                        // wait for swizzle operation
v_accvgpr_write_b32 acc188, v5                     // 
v_accvgpr_read_b32 v5, acc189                      // glvw 4 mb 5 tt1 29 r 0
s_nop 1                                            // v_accvgpr read vgpr after write vgpr: 2 wait states
ds_bpermute_b32 v5, v0, v5, offset:16              // permute edge values
s_waitcnt 0                                        // wait for swizzle operation
v_accvgpr_write_b32 acc189, v5                     // 
v_accvgpr_read_b32 v5, acc190                      // glvw 4 mb 5 tt1 30 r 0
s_nop 1                                            // v_accvgpr read vgpr after write vgpr: 2 wait states
ds_bpermute_b32 v5, v0, v5, offset:16              // permute edge values
s_waitcnt 0                                        // wait for swizzle operation
v_accvgpr_write_b32 acc190, v5                     // 
v_accvgpr_read_b32 v5, acc191                      // glvw 4 mb 5 tt1 31 r 0
s_nop 1                                            // v_accvgpr read vgpr after write vgpr: 2 wait states
ds_bpermute_b32 v5, v0, v5, offset:16              // permute edge values
s_waitcnt 0                                        // wait for swizzle operation
v_accvgpr_write_b32 acc191, v5                     // 
s_mov_b64 s[32:33], 0xFFFFFFFFFFFFFFFF             // to restore all threads active
s_or_saveexec_b64 vcc, s[32:33]                    // all threads active
s_branch label_0148                                // done shifting


/******************************************/
/* shift d1 r=4 mb=6 vw0                  */
/******************************************/
label_0094: // r4 mb6 vw0 
s_mov_b32 s32, 24                                  // 
_v_cmpx_eq_u32 s[32:33], v4, s32                   // is thread in edge glvw region
v_and_b32 v0, 63, v[vgprSerial]                    // permute register between threads
v_lshlrev_b32 v0, 2, v0                            // permute register between threads
v_accvgpr_read_b32 v5, acc192                      // glvw 4 mb 6 tt1 0 r 0
s_nop 1                                            // v_accvgpr read vgpr after write vgpr: 2 wait states
ds_bpermute_b32 v5, v0, v5, offset:16              // permute edge values
s_waitcnt 0                                        // wait for swizzle operation
v_accvgpr_write_b32 acc192, v5                     // 
v_accvgpr_read_b32 v5, acc193                      // glvw 4 mb 6 tt1 1 r 0
s_nop 1                                            // v_accvgpr read vgpr after write vgpr: 2 wait states
ds_bpermute_b32 v5, v0, v5, offset:16              // permute edge values
s_waitcnt 0                                        // wait for swizzle operation
v_accvgpr_write_b32 acc193, v5                     // 
v_accvgpr_read_b32 v5, acc194                      // glvw 4 mb 6 tt1 2 r 0
s_nop 1                                            // v_accvgpr read vgpr after write vgpr: 2 wait states
ds_bpermute_b32 v5, v0, v5, offset:16              // permute edge values
s_waitcnt 0                                        // wait for swizzle operation
v_accvgpr_write_b32 acc194, v5                     // 
v_accvgpr_read_b32 v5, acc195                      // glvw 4 mb 6 tt1 3 r 0
s_nop 1                                            // v_accvgpr read vgpr after write vgpr: 2 wait states
ds_bpermute_b32 v5, v0, v5, offset:16              // permute edge values
s_waitcnt 0                                        // wait for swizzle operation
v_accvgpr_write_b32 acc195, v5                     // 
v_accvgpr_read_b32 v5, acc196                      // glvw 4 mb 6 tt1 4 r 0
s_nop 1                                            // v_accvgpr read vgpr after write vgpr: 2 wait states
ds_bpermute_b32 v5, v0, v5, offset:16              // permute edge values
s_waitcnt 0                                        // wait for swizzle operation
v_accvgpr_write_b32 acc196, v5                     // 
v_accvgpr_read_b32 v5, acc197                      // glvw 4 mb 6 tt1 5 r 0
s_nop 1                                            // v_accvgpr read vgpr after write vgpr: 2 wait states
ds_bpermute_b32 v5, v0, v5, offset:16              // permute edge values
s_waitcnt 0                                        // wait for swizzle operation
v_accvgpr_write_b32 acc197, v5                     // 
v_accvgpr_read_b32 v5, acc198                      // glvw 4 mb 6 tt1 6 r 0
s_nop 1                                            // v_accvgpr read vgpr after write vgpr: 2 wait states
ds_bpermute_b32 v5, v0, v5, offset:16              // permute edge values
s_waitcnt 0                                        // wait for swizzle operation
v_accvgpr_write_b32 acc198, v5                     // 
v_accvgpr_read_b32 v5, acc199                      // glvw 4 mb 6 tt1 7 r 0
s_nop 1                                            // v_accvgpr read vgpr after write vgpr: 2 wait states
ds_bpermute_b32 v5, v0, v5, offset:16              // permute edge values
s_waitcnt 0                                        // wait for swizzle operation
v_accvgpr_write_b32 acc199, v5                     // 
v_accvgpr_read_b32 v5, acc200                      // glvw 4 mb 6 tt1 8 r 0
s_nop 1                                            // v_accvgpr read vgpr after write vgpr: 2 wait states
ds_bpermute_b32 v5, v0, v5, offset:16              // permute edge values
s_waitcnt 0                                        // wait for swizzle operation
v_accvgpr_write_b32 acc200, v5                     // 
v_accvgpr_read_b32 v5, acc201                      // glvw 4 mb 6 tt1 9 r 0
s_nop 1                                            // v_accvgpr read vgpr after write vgpr: 2 wait states
ds_bpermute_b32 v5, v0, v5, offset:16              // permute edge values
s_waitcnt 0                                        // wait for swizzle operation
v_accvgpr_write_b32 acc201, v5                     // 
v_accvgpr_read_b32 v5, acc202                      // glvw 4 mb 6 tt1 10 r 0
s_nop 1                                            // v_accvgpr read vgpr after write vgpr: 2 wait states
ds_bpermute_b32 v5, v0, v5, offset:16              // permute edge values
s_waitcnt 0                                        // wait for swizzle operation
v_accvgpr_write_b32 acc202, v5                     // 
v_accvgpr_read_b32 v5, acc203                      // glvw 4 mb 6 tt1 11 r 0
s_nop 1                                            // v_accvgpr read vgpr after write vgpr: 2 wait states
ds_bpermute_b32 v5, v0, v5, offset:16              // permute edge values
s_waitcnt 0                                        // wait for swizzle operation
v_accvgpr_write_b32 acc203, v5                     // 
v_accvgpr_read_b32 v5, acc204                      // glvw 4 mb 6 tt1 12 r 0
s_nop 1                                            // v_accvgpr read vgpr after write vgpr: 2 wait states
ds_bpermute_b32 v5, v0, v5, offset:16              // permute edge values
s_waitcnt 0                                        // wait for swizzle operation
v_accvgpr_write_b32 acc204, v5                     // 
v_accvgpr_read_b32 v5, acc205                      // glvw 4 mb 6 tt1 13 r 0
s_nop 1                                            // v_accvgpr read vgpr after write vgpr: 2 wait states
ds_bpermute_b32 v5, v0, v5, offset:16              // permute edge values
s_waitcnt 0                                        // wait for swizzle operation
v_accvgpr_write_b32 acc205, v5                     // 
v_accvgpr_read_b32 v5, acc206                      // glvw 4 mb 6 tt1 14 r 0
s_nop 1                                            // v_accvgpr read vgpr after write vgpr: 2 wait states
ds_bpermute_b32 v5, v0, v5, offset:16              // permute edge values
s_waitcnt 0                                        // wait for swizzle operation
v_accvgpr_write_b32 acc206, v5                     // 
v_accvgpr_read_b32 v5, acc207                      // glvw 4 mb 6 tt1 15 r 0
s_nop 1                                            // v_accvgpr read vgpr after write vgpr: 2 wait states
ds_bpermute_b32 v5, v0, v5, offset:16              // permute edge values
s_waitcnt 0                                        // wait for swizzle operation
v_accvgpr_write_b32 acc207, v5                     // 
v_accvgpr_read_b32 v5, acc208                      // glvw 4 mb 6 tt1 16 r 0
s_nop 1                                            // v_accvgpr read vgpr after write vgpr: 2 wait states
ds_bpermute_b32 v5, v0, v5, offset:16              // permute edge values
s_waitcnt 0                                        // wait for swizzle operation
v_accvgpr_write_b32 acc208, v5                     // 
v_accvgpr_read_b32 v5, acc209                      // glvw 4 mb 6 tt1 17 r 0
s_nop 1                                            // v_accvgpr read vgpr after write vgpr: 2 wait states
ds_bpermute_b32 v5, v0, v5, offset:16              // permute edge values
s_waitcnt 0                                        // wait for swizzle operation
v_accvgpr_write_b32 acc209, v5                     // 
v_accvgpr_read_b32 v5, acc210                      // glvw 4 mb 6 tt1 18 r 0
s_nop 1                                            // v_accvgpr read vgpr after write vgpr: 2 wait states
ds_bpermute_b32 v5, v0, v5, offset:16              // permute edge values
s_waitcnt 0                                        // wait for swizzle operation
v_accvgpr_write_b32 acc210, v5                     // 
v_accvgpr_read_b32 v5, acc211                      // glvw 4 mb 6 tt1 19 r 0
s_nop 1                                            // v_accvgpr read vgpr after write vgpr: 2 wait states
ds_bpermute_b32 v5, v0, v5, offset:16              // permute edge values
s_waitcnt 0                                        // wait for swizzle operation
v_accvgpr_write_b32 acc211, v5                     // 
v_accvgpr_read_b32 v5, acc212                      // glvw 4 mb 6 tt1 20 r 0
s_nop 1                                            // v_accvgpr read vgpr after write vgpr: 2 wait states
ds_bpermute_b32 v5, v0, v5, offset:16              // permute edge values
s_waitcnt 0                                        // wait for swizzle operation
v_accvgpr_write_b32 acc212, v5                     // 
v_accvgpr_read_b32 v5, acc213                      // glvw 4 mb 6 tt1 21 r 0
s_nop 1                                            // v_accvgpr read vgpr after write vgpr: 2 wait states
ds_bpermute_b32 v5, v0, v5, offset:16              // permute edge values
s_waitcnt 0                                        // wait for swizzle operation
v_accvgpr_write_b32 acc213, v5                     // 
v_accvgpr_read_b32 v5, acc214                      // glvw 4 mb 6 tt1 22 r 0
s_nop 1                                            // v_accvgpr read vgpr after write vgpr: 2 wait states
ds_bpermute_b32 v5, v0, v5, offset:16              // permute edge values
s_waitcnt 0                                        // wait for swizzle operation
v_accvgpr_write_b32 acc214, v5                     // 
v_accvgpr_read_b32 v5, acc215                      // glvw 4 mb 6 tt1 23 r 0
s_nop 1                                            // v_accvgpr read vgpr after write vgpr: 2 wait states
ds_bpermute_b32 v5, v0, v5, offset:16              // permute edge values
s_waitcnt 0                                        // wait for swizzle operation
v_accvgpr_write_b32 acc215, v5                     // 
v_accvgpr_read_b32 v5, acc216                      // glvw 4 mb 6 tt1 24 r 0
s_nop 1                                            // v_accvgpr read vgpr after write vgpr: 2 wait states
ds_bpermute_b32 v5, v0, v5, offset:16              // permute edge values
s_waitcnt 0                                        // wait for swizzle operation
v_accvgpr_write_b32 acc216, v5                     // 
v_accvgpr_read_b32 v5, acc217                      // glvw 4 mb 6 tt1 25 r 0
s_nop 1                                            // v_accvgpr read vgpr after write vgpr: 2 wait states
ds_bpermute_b32 v5, v0, v5, offset:16              // permute edge values
s_waitcnt 0                                        // wait for swizzle operation
v_accvgpr_write_b32 acc217, v5                     // 
v_accvgpr_read_b32 v5, acc218                      // glvw 4 mb 6 tt1 26 r 0
s_nop 1                                            // v_accvgpr read vgpr after write vgpr: 2 wait states
ds_bpermute_b32 v5, v0, v5, offset:16              // permute edge values
s_waitcnt 0                                        // wait for swizzle operation
v_accvgpr_write_b32 acc218, v5                     // 
v_accvgpr_read_b32 v5, acc219                      // glvw 4 mb 6 tt1 27 r 0
s_nop 1                                            // v_accvgpr read vgpr after write vgpr: 2 wait states
ds_bpermute_b32 v5, v0, v5, offset:16              // permute edge values
s_waitcnt 0                                        // wait for swizzle operation
v_accvgpr_write_b32 acc219, v5                     // 
v_accvgpr_read_b32 v5, acc220                      // glvw 4 mb 6 tt1 28 r 0
s_nop 1                                            // v_accvgpr read vgpr after write vgpr: 2 wait states
ds_bpermute_b32 v5, v0, v5, offset:16              // permute edge values
s_waitcnt 0                                        // wait for swizzle operation
v_accvgpr_write_b32 acc220, v5                     // 
v_accvgpr_read_b32 v5, acc221                      // glvw 4 mb 6 tt1 29 r 0
s_nop 1                                            // v_accvgpr read vgpr after write vgpr: 2 wait states
ds_bpermute_b32 v5, v0, v5, offset:16              // permute edge values
s_waitcnt 0                                        // wait for swizzle operation
v_accvgpr_write_b32 acc221, v5                     // 
v_accvgpr_read_b32 v5, acc222                      // glvw 4 mb 6 tt1 30 r 0
s_nop 1                                            // v_accvgpr read vgpr after write vgpr: 2 wait states
ds_bpermute_b32 v5, v0, v5, offset:16              // permute edge values
s_waitcnt 0                                        // wait for swizzle operation
v_accvgpr_write_b32 acc222, v5                     // 
v_accvgpr_read_b32 v5, acc223                      // glvw 4 mb 6 tt1 31 r 0
s_nop 1                                            // v_accvgpr read vgpr after write vgpr: 2 wait states
ds_bpermute_b32 v5, v0, v5, offset:16              // permute edge values
s_waitcnt 0                                        // wait for swizzle operation
v_accvgpr_write_b32 acc223, v5                     // 
s_mov_b64 s[32:33], 0xFFFFFFFFFFFFFFFF             // to restore all threads active
s_or_saveexec_b64 vcc, s[32:33]                    // all threads active
s_branch label_0148                                // done shifting


/******************************************/
/* shift d1 r=4 mb=7 vw0                  */
/******************************************/
label_0096: // r4 mb7 vw0 
s_mov_b32 s32, 28                                  // 
_v_cmpx_eq_u32 s[32:33], v4, s32                   // is thread in edge glvw region
v_and_b32 v0, 63, v[vgprSerial]                    // permute register between threads
v_lshlrev_b32 v0, 2, v0                            // permute register between threads
v_accvgpr_read_b32 v5, acc224                      // glvw 4 mb 7 tt1 0 r 0
s_nop 1                                            // v_accvgpr read vgpr after write vgpr: 2 wait states
ds_bpermute_b32 v5, v0, v5, offset:16              // permute edge values
s_waitcnt 0                                        // wait for swizzle operation
v_accvgpr_write_b32 acc224, v5                     // 
v_accvgpr_read_b32 v5, acc225                      // glvw 4 mb 7 tt1 1 r 0
s_nop 1                                            // v_accvgpr read vgpr after write vgpr: 2 wait states
ds_bpermute_b32 v5, v0, v5, offset:16              // permute edge values
s_waitcnt 0                                        // wait for swizzle operation
v_accvgpr_write_b32 acc225, v5                     // 
v_accvgpr_read_b32 v5, acc226                      // glvw 4 mb 7 tt1 2 r 0
s_nop 1                                            // v_accvgpr read vgpr after write vgpr: 2 wait states
ds_bpermute_b32 v5, v0, v5, offset:16              // permute edge values
s_waitcnt 0                                        // wait for swizzle operation
v_accvgpr_write_b32 acc226, v5                     // 
v_accvgpr_read_b32 v5, acc227                      // glvw 4 mb 7 tt1 3 r 0
s_nop 1                                            // v_accvgpr read vgpr after write vgpr: 2 wait states
ds_bpermute_b32 v5, v0, v5, offset:16              // permute edge values
s_waitcnt 0                                        // wait for swizzle operation
v_accvgpr_write_b32 acc227, v5                     // 
v_accvgpr_read_b32 v5, acc228                      // glvw 4 mb 7 tt1 4 r 0
s_nop 1                                            // v_accvgpr read vgpr after write vgpr: 2 wait states
ds_bpermute_b32 v5, v0, v5, offset:16              // permute edge values
s_waitcnt 0                                        // wait for swizzle operation
v_accvgpr_write_b32 acc228, v5                     // 
v_accvgpr_read_b32 v5, acc229                      // glvw 4 mb 7 tt1 5 r 0
s_nop 1                                            // v_accvgpr read vgpr after write vgpr: 2 wait states
ds_bpermute_b32 v5, v0, v5, offset:16              // permute edge values
s_waitcnt 0                                        // wait for swizzle operation
v_accvgpr_write_b32 acc229, v5                     // 
v_accvgpr_read_b32 v5, acc230                      // glvw 4 mb 7 tt1 6 r 0
s_nop 1                                            // v_accvgpr read vgpr after write vgpr: 2 wait states
ds_bpermute_b32 v5, v0, v5, offset:16              // permute edge values
s_waitcnt 0                                        // wait for swizzle operation
v_accvgpr_write_b32 acc230, v5                     // 
v_accvgpr_read_b32 v5, acc231                      // glvw 4 mb 7 tt1 7 r 0
s_nop 1                                            // v_accvgpr read vgpr after write vgpr: 2 wait states
ds_bpermute_b32 v5, v0, v5, offset:16              // permute edge values
s_waitcnt 0                                        // wait for swizzle operation
v_accvgpr_write_b32 acc231, v5                     // 
v_accvgpr_read_b32 v5, acc232                      // glvw 4 mb 7 tt1 8 r 0
s_nop 1                                            // v_accvgpr read vgpr after write vgpr: 2 wait states
ds_bpermute_b32 v5, v0, v5, offset:16              // permute edge values
s_waitcnt 0                                        // wait for swizzle operation
v_accvgpr_write_b32 acc232, v5                     // 
v_accvgpr_read_b32 v5, acc233                      // glvw 4 mb 7 tt1 9 r 0
s_nop 1                                            // v_accvgpr read vgpr after write vgpr: 2 wait states
ds_bpermute_b32 v5, v0, v5, offset:16              // permute edge values
s_waitcnt 0                                        // wait for swizzle operation
v_accvgpr_write_b32 acc233, v5                     // 
v_accvgpr_read_b32 v5, acc234                      // glvw 4 mb 7 tt1 10 r 0
s_nop 1                                            // v_accvgpr read vgpr after write vgpr: 2 wait states
ds_bpermute_b32 v5, v0, v5, offset:16              // permute edge values
s_waitcnt 0                                        // wait for swizzle operation
v_accvgpr_write_b32 acc234, v5                     // 
v_accvgpr_read_b32 v5, acc235                      // glvw 4 mb 7 tt1 11 r 0
s_nop 1                                            // v_accvgpr read vgpr after write vgpr: 2 wait states
ds_bpermute_b32 v5, v0, v5, offset:16              // permute edge values
s_waitcnt 0                                        // wait for swizzle operation
v_accvgpr_write_b32 acc235, v5                     // 
v_accvgpr_read_b32 v5, acc236                      // glvw 4 mb 7 tt1 12 r 0
s_nop 1                                            // v_accvgpr read vgpr after write vgpr: 2 wait states
ds_bpermute_b32 v5, v0, v5, offset:16              // permute edge values
s_waitcnt 0                                        // wait for swizzle operation
v_accvgpr_write_b32 acc236, v5                     // 
v_accvgpr_read_b32 v5, acc237                      // glvw 4 mb 7 tt1 13 r 0
s_nop 1                                            // v_accvgpr read vgpr after write vgpr: 2 wait states
ds_bpermute_b32 v5, v0, v5, offset:16              // permute edge values
s_waitcnt 0                                        // wait for swizzle operation
v_accvgpr_write_b32 acc237, v5                     // 
v_accvgpr_read_b32 v5, acc238                      // glvw 4 mb 7 tt1 14 r 0
s_nop 1                                            // v_accvgpr read vgpr after write vgpr: 2 wait states
ds_bpermute_b32 v5, v0, v5, offset:16              // permute edge values
s_waitcnt 0                                        // wait for swizzle operation
v_accvgpr_write_b32 acc238, v5                     // 
v_accvgpr_read_b32 v5, acc239                      // glvw 4 mb 7 tt1 15 r 0
s_nop 1                                            // v_accvgpr read vgpr after write vgpr: 2 wait states
ds_bpermute_b32 v5, v0, v5, offset:16              // permute edge values
s_waitcnt 0                                        // wait for swizzle operation
v_accvgpr_write_b32 acc239, v5                     // 
v_accvgpr_read_b32 v5, acc240                      // glvw 4 mb 7 tt1 16 r 0
s_nop 1                                            // v_accvgpr read vgpr after write vgpr: 2 wait states
ds_bpermute_b32 v5, v0, v5, offset:16              // permute edge values
s_waitcnt 0                                        // wait for swizzle operation
v_accvgpr_write_b32 acc240, v5                     // 
v_accvgpr_read_b32 v5, acc241                      // glvw 4 mb 7 tt1 17 r 0
s_nop 1                                            // v_accvgpr read vgpr after write vgpr: 2 wait states
ds_bpermute_b32 v5, v0, v5, offset:16              // permute edge values
s_waitcnt 0                                        // wait for swizzle operation
v_accvgpr_write_b32 acc241, v5                     // 
v_accvgpr_read_b32 v5, acc242                      // glvw 4 mb 7 tt1 18 r 0
s_nop 1                                            // v_accvgpr read vgpr after write vgpr: 2 wait states
ds_bpermute_b32 v5, v0, v5, offset:16              // permute edge values
s_waitcnt 0                                        // wait for swizzle operation
v_accvgpr_write_b32 acc242, v5                     // 
v_accvgpr_read_b32 v5, acc243                      // glvw 4 mb 7 tt1 19 r 0
s_nop 1                                            // v_accvgpr read vgpr after write vgpr: 2 wait states
ds_bpermute_b32 v5, v0, v5, offset:16              // permute edge values
s_waitcnt 0                                        // wait for swizzle operation
v_accvgpr_write_b32 acc243, v5                     // 
v_accvgpr_read_b32 v5, acc244                      // glvw 4 mb 7 tt1 20 r 0
s_nop 1                                            // v_accvgpr read vgpr after write vgpr: 2 wait states
ds_bpermute_b32 v5, v0, v5, offset:16              // permute edge values
s_waitcnt 0                                        // wait for swizzle operation
v_accvgpr_write_b32 acc244, v5                     // 
v_accvgpr_read_b32 v5, acc245                      // glvw 4 mb 7 tt1 21 r 0
s_nop 1                                            // v_accvgpr read vgpr after write vgpr: 2 wait states
ds_bpermute_b32 v5, v0, v5, offset:16              // permute edge values
s_waitcnt 0                                        // wait for swizzle operation
v_accvgpr_write_b32 acc245, v5                     // 
v_accvgpr_read_b32 v5, acc246                      // glvw 4 mb 7 tt1 22 r 0
s_nop 1                                            // v_accvgpr read vgpr after write vgpr: 2 wait states
ds_bpermute_b32 v5, v0, v5, offset:16              // permute edge values
s_waitcnt 0                                        // wait for swizzle operation
v_accvgpr_write_b32 acc246, v5                     // 
v_accvgpr_read_b32 v5, acc247                      // glvw 4 mb 7 tt1 23 r 0
s_nop 1                                            // v_accvgpr read vgpr after write vgpr: 2 wait states
ds_bpermute_b32 v5, v0, v5, offset:16              // permute edge values
s_waitcnt 0                                        // wait for swizzle operation
v_accvgpr_write_b32 acc247, v5                     // 
v_accvgpr_read_b32 v5, acc248                      // glvw 4 mb 7 tt1 24 r 0
s_nop 1                                            // v_accvgpr read vgpr after write vgpr: 2 wait states
ds_bpermute_b32 v5, v0, v5, offset:16              // permute edge values
s_waitcnt 0                                        // wait for swizzle operation
v_accvgpr_write_b32 acc248, v5                     // 
v_accvgpr_read_b32 v5, acc249                      // glvw 4 mb 7 tt1 25 r 0
s_nop 1                                            // v_accvgpr read vgpr after write vgpr: 2 wait states
ds_bpermute_b32 v5, v0, v5, offset:16              // permute edge values
s_waitcnt 0                                        // wait for swizzle operation
v_accvgpr_write_b32 acc249, v5                     // 
v_accvgpr_read_b32 v5, acc250                      // glvw 4 mb 7 tt1 26 r 0
s_nop 1                                            // v_accvgpr read vgpr after write vgpr: 2 wait states
ds_bpermute_b32 v5, v0, v5, offset:16              // permute edge values
s_waitcnt 0                                        // wait for swizzle operation
v_accvgpr_write_b32 acc250, v5                     // 
v_accvgpr_read_b32 v5, acc251                      // glvw 4 mb 7 tt1 27 r 0
s_nop 1                                            // v_accvgpr read vgpr after write vgpr: 2 wait states
ds_bpermute_b32 v5, v0, v5, offset:16              // permute edge values
s_waitcnt 0                                        // wait for swizzle operation
v_accvgpr_write_b32 acc251, v5                     // 
v_accvgpr_read_b32 v5, acc252                      // glvw 4 mb 7 tt1 28 r 0
s_nop 1                                            // v_accvgpr read vgpr after write vgpr: 2 wait states
ds_bpermute_b32 v5, v0, v5, offset:16              // permute edge values
s_waitcnt 0                                        // wait for swizzle operation
v_accvgpr_write_b32 acc252, v5                     // 
v_accvgpr_read_b32 v5, acc253                      // glvw 4 mb 7 tt1 29 r 0
s_nop 1                                            // v_accvgpr read vgpr after write vgpr: 2 wait states
ds_bpermute_b32 v5, v0, v5, offset:16              // permute edge values
s_waitcnt 0                                        // wait for swizzle operation
v_accvgpr_write_b32 acc253, v5                     // 
v_accvgpr_read_b32 v5, acc254                      // glvw 4 mb 7 tt1 30 r 0
s_nop 1                                            // v_accvgpr read vgpr after write vgpr: 2 wait states
ds_bpermute_b32 v5, v0, v5, offset:16              // permute edge values
s_waitcnt 0                                        // wait for swizzle operation
v_accvgpr_write_b32 acc254, v5                     // 
v_accvgpr_read_b32 v5, acc255                      // glvw 4 mb 7 tt1 31 r 0
s_nop 1                                            // v_accvgpr read vgpr after write vgpr: 2 wait states
ds_bpermute_b32 v5, v0, v5, offset:16              // permute edge values
s_waitcnt 0                                        // wait for swizzle operation
v_accvgpr_write_b32 acc255, v5                     // 
s_mov_b64 s[32:33], 0xFFFFFFFFFFFFFFFF             // to restore all threads active
s_or_saveexec_b64 vcc, s[32:33]                    // all threads active
s_branch label_0148                                // done shifting


/******************************************/
/* shift d1 r=5 mb=0 vw0                  */
/******************************************/
label_0099: // r5 mb0 vw0 
s_mov_b32 s32, 0                                   // 
_v_cmpx_eq_u32 s[32:33], v4, s32                   // is thread in edge glvw region
v_and_b32 v0, 63, v[vgprSerial]                    // permute register between threads
v_lshlrev_b32 v0, 2, v0                            // permute register between threads
v_accvgpr_read_b32 v5, acc0                        // glvw 5 mb 0 tt1 0 r 0
s_nop 1                                            // v_accvgpr read vgpr after write vgpr: 2 wait states
ds_bpermute_b32 v5, v0, v5, offset:12              // permute edge values
s_waitcnt 0                                        // wait for swizzle operation
v_accvgpr_write_b32 acc0, v5                       // 
v_accvgpr_read_b32 v5, acc1                        // glvw 5 mb 0 tt1 1 r 0
s_nop 1                                            // v_accvgpr read vgpr after write vgpr: 2 wait states
ds_bpermute_b32 v5, v0, v5, offset:12              // permute edge values
s_waitcnt 0                                        // wait for swizzle operation
v_accvgpr_write_b32 acc1, v5                       // 
v_accvgpr_read_b32 v5, acc2                        // glvw 5 mb 0 tt1 2 r 0
s_nop 1                                            // v_accvgpr read vgpr after write vgpr: 2 wait states
ds_bpermute_b32 v5, v0, v5, offset:12              // permute edge values
s_waitcnt 0                                        // wait for swizzle operation
v_accvgpr_write_b32 acc2, v5                       // 
v_accvgpr_read_b32 v5, acc3                        // glvw 5 mb 0 tt1 3 r 0
s_nop 1                                            // v_accvgpr read vgpr after write vgpr: 2 wait states
ds_bpermute_b32 v5, v0, v5, offset:12              // permute edge values
s_waitcnt 0                                        // wait for swizzle operation
v_accvgpr_write_b32 acc3, v5                       // 
v_accvgpr_read_b32 v5, acc4                        // glvw 5 mb 0 tt1 4 r 0
s_nop 1                                            // v_accvgpr read vgpr after write vgpr: 2 wait states
ds_bpermute_b32 v5, v0, v5, offset:12              // permute edge values
s_waitcnt 0                                        // wait for swizzle operation
v_accvgpr_write_b32 acc4, v5                       // 
v_accvgpr_read_b32 v5, acc5                        // glvw 5 mb 0 tt1 5 r 0
s_nop 1                                            // v_accvgpr read vgpr after write vgpr: 2 wait states
ds_bpermute_b32 v5, v0, v5, offset:12              // permute edge values
s_waitcnt 0                                        // wait for swizzle operation
v_accvgpr_write_b32 acc5, v5                       // 
v_accvgpr_read_b32 v5, acc6                        // glvw 5 mb 0 tt1 6 r 0
s_nop 1                                            // v_accvgpr read vgpr after write vgpr: 2 wait states
ds_bpermute_b32 v5, v0, v5, offset:12              // permute edge values
s_waitcnt 0                                        // wait for swizzle operation
v_accvgpr_write_b32 acc6, v5                       // 
v_accvgpr_read_b32 v5, acc7                        // glvw 5 mb 0 tt1 7 r 0
s_nop 1                                            // v_accvgpr read vgpr after write vgpr: 2 wait states
ds_bpermute_b32 v5, v0, v5, offset:12              // permute edge values
s_waitcnt 0                                        // wait for swizzle operation
v_accvgpr_write_b32 acc7, v5                       // 
v_accvgpr_read_b32 v5, acc8                        // glvw 5 mb 0 tt1 8 r 0
s_nop 1                                            // v_accvgpr read vgpr after write vgpr: 2 wait states
ds_bpermute_b32 v5, v0, v5, offset:12              // permute edge values
s_waitcnt 0                                        // wait for swizzle operation
v_accvgpr_write_b32 acc8, v5                       // 
v_accvgpr_read_b32 v5, acc9                        // glvw 5 mb 0 tt1 9 r 0
s_nop 1                                            // v_accvgpr read vgpr after write vgpr: 2 wait states
ds_bpermute_b32 v5, v0, v5, offset:12              // permute edge values
s_waitcnt 0                                        // wait for swizzle operation
v_accvgpr_write_b32 acc9, v5                       // 
v_accvgpr_read_b32 v5, acc10                       // glvw 5 mb 0 tt1 10 r 0
s_nop 1                                            // v_accvgpr read vgpr after write vgpr: 2 wait states
ds_bpermute_b32 v5, v0, v5, offset:12              // permute edge values
s_waitcnt 0                                        // wait for swizzle operation
v_accvgpr_write_b32 acc10, v5                      // 
v_accvgpr_read_b32 v5, acc11                       // glvw 5 mb 0 tt1 11 r 0
s_nop 1                                            // v_accvgpr read vgpr after write vgpr: 2 wait states
ds_bpermute_b32 v5, v0, v5, offset:12              // permute edge values
s_waitcnt 0                                        // wait for swizzle operation
v_accvgpr_write_b32 acc11, v5                      // 
v_accvgpr_read_b32 v5, acc12                       // glvw 5 mb 0 tt1 12 r 0
s_nop 1                                            // v_accvgpr read vgpr after write vgpr: 2 wait states
ds_bpermute_b32 v5, v0, v5, offset:12              // permute edge values
s_waitcnt 0                                        // wait for swizzle operation
v_accvgpr_write_b32 acc12, v5                      // 
v_accvgpr_read_b32 v5, acc13                       // glvw 5 mb 0 tt1 13 r 0
s_nop 1                                            // v_accvgpr read vgpr after write vgpr: 2 wait states
ds_bpermute_b32 v5, v0, v5, offset:12              // permute edge values
s_waitcnt 0                                        // wait for swizzle operation
v_accvgpr_write_b32 acc13, v5                      // 
v_accvgpr_read_b32 v5, acc14                       // glvw 5 mb 0 tt1 14 r 0
s_nop 1                                            // v_accvgpr read vgpr after write vgpr: 2 wait states
ds_bpermute_b32 v5, v0, v5, offset:12              // permute edge values
s_waitcnt 0                                        // wait for swizzle operation
v_accvgpr_write_b32 acc14, v5                      // 
v_accvgpr_read_b32 v5, acc15                       // glvw 5 mb 0 tt1 15 r 0
s_nop 1                                            // v_accvgpr read vgpr after write vgpr: 2 wait states
ds_bpermute_b32 v5, v0, v5, offset:12              // permute edge values
s_waitcnt 0                                        // wait for swizzle operation
v_accvgpr_write_b32 acc15, v5                      // 
v_accvgpr_read_b32 v5, acc16                       // glvw 5 mb 0 tt1 16 r 0
s_nop 1                                            // v_accvgpr read vgpr after write vgpr: 2 wait states
ds_bpermute_b32 v5, v0, v5, offset:12              // permute edge values
s_waitcnt 0                                        // wait for swizzle operation
v_accvgpr_write_b32 acc16, v5                      // 
v_accvgpr_read_b32 v5, acc17                       // glvw 5 mb 0 tt1 17 r 0
s_nop 1                                            // v_accvgpr read vgpr after write vgpr: 2 wait states
ds_bpermute_b32 v5, v0, v5, offset:12              // permute edge values
s_waitcnt 0                                        // wait for swizzle operation
v_accvgpr_write_b32 acc17, v5                      // 
v_accvgpr_read_b32 v5, acc18                       // glvw 5 mb 0 tt1 18 r 0
s_nop 1                                            // v_accvgpr read vgpr after write vgpr: 2 wait states
ds_bpermute_b32 v5, v0, v5, offset:12              // permute edge values
s_waitcnt 0                                        // wait for swizzle operation
v_accvgpr_write_b32 acc18, v5                      // 
v_accvgpr_read_b32 v5, acc19                       // glvw 5 mb 0 tt1 19 r 0
s_nop 1                                            // v_accvgpr read vgpr after write vgpr: 2 wait states
ds_bpermute_b32 v5, v0, v5, offset:12              // permute edge values
s_waitcnt 0                                        // wait for swizzle operation
v_accvgpr_write_b32 acc19, v5                      // 
v_accvgpr_read_b32 v5, acc20                       // glvw 5 mb 0 tt1 20 r 0
s_nop 1                                            // v_accvgpr read vgpr after write vgpr: 2 wait states
ds_bpermute_b32 v5, v0, v5, offset:12              // permute edge values
s_waitcnt 0                                        // wait for swizzle operation
v_accvgpr_write_b32 acc20, v5                      // 
v_accvgpr_read_b32 v5, acc21                       // glvw 5 mb 0 tt1 21 r 0
s_nop 1                                            // v_accvgpr read vgpr after write vgpr: 2 wait states
ds_bpermute_b32 v5, v0, v5, offset:12              // permute edge values
s_waitcnt 0                                        // wait for swizzle operation
v_accvgpr_write_b32 acc21, v5                      // 
v_accvgpr_read_b32 v5, acc22                       // glvw 5 mb 0 tt1 22 r 0
s_nop 1                                            // v_accvgpr read vgpr after write vgpr: 2 wait states
ds_bpermute_b32 v5, v0, v5, offset:12              // permute edge values
s_waitcnt 0                                        // wait for swizzle operation
v_accvgpr_write_b32 acc22, v5                      // 
v_accvgpr_read_b32 v5, acc23                       // glvw 5 mb 0 tt1 23 r 0
s_nop 1                                            // v_accvgpr read vgpr after write vgpr: 2 wait states
ds_bpermute_b32 v5, v0, v5, offset:12              // permute edge values
s_waitcnt 0                                        // wait for swizzle operation
v_accvgpr_write_b32 acc23, v5                      // 
v_accvgpr_read_b32 v5, acc24                       // glvw 5 mb 0 tt1 24 r 0
s_nop 1                                            // v_accvgpr read vgpr after write vgpr: 2 wait states
ds_bpermute_b32 v5, v0, v5, offset:12              // permute edge values
s_waitcnt 0                                        // wait for swizzle operation
v_accvgpr_write_b32 acc24, v5                      // 
v_accvgpr_read_b32 v5, acc25                       // glvw 5 mb 0 tt1 25 r 0
s_nop 1                                            // v_accvgpr read vgpr after write vgpr: 2 wait states
ds_bpermute_b32 v5, v0, v5, offset:12              // permute edge values
s_waitcnt 0                                        // wait for swizzle operation
v_accvgpr_write_b32 acc25, v5                      // 
v_accvgpr_read_b32 v5, acc26                       // glvw 5 mb 0 tt1 26 r 0
s_nop 1                                            // v_accvgpr read vgpr after write vgpr: 2 wait states
ds_bpermute_b32 v5, v0, v5, offset:12              // permute edge values
s_waitcnt 0                                        // wait for swizzle operation
v_accvgpr_write_b32 acc26, v5                      // 
v_accvgpr_read_b32 v5, acc27                       // glvw 5 mb 0 tt1 27 r 0
s_nop 1                                            // v_accvgpr read vgpr after write vgpr: 2 wait states
ds_bpermute_b32 v5, v0, v5, offset:12              // permute edge values
s_waitcnt 0                                        // wait for swizzle operation
v_accvgpr_write_b32 acc27, v5                      // 
v_accvgpr_read_b32 v5, acc28                       // glvw 5 mb 0 tt1 28 r 0
s_nop 1                                            // v_accvgpr read vgpr after write vgpr: 2 wait states
ds_bpermute_b32 v5, v0, v5, offset:12              // permute edge values
s_waitcnt 0                                        // wait for swizzle operation
v_accvgpr_write_b32 acc28, v5                      // 
v_accvgpr_read_b32 v5, acc29                       // glvw 5 mb 0 tt1 29 r 0
s_nop 1                                            // v_accvgpr read vgpr after write vgpr: 2 wait states
ds_bpermute_b32 v5, v0, v5, offset:12              // permute edge values
s_waitcnt 0                                        // wait for swizzle operation
v_accvgpr_write_b32 acc29, v5                      // 
v_accvgpr_read_b32 v5, acc30                       // glvw 5 mb 0 tt1 30 r 0
s_nop 1                                            // v_accvgpr read vgpr after write vgpr: 2 wait states
ds_bpermute_b32 v5, v0, v5, offset:12              // permute edge values
s_waitcnt 0                                        // wait for swizzle operation
v_accvgpr_write_b32 acc30, v5                      // 
v_accvgpr_read_b32 v5, acc31                       // glvw 5 mb 0 tt1 31 r 0
s_nop 1                                            // v_accvgpr read vgpr after write vgpr: 2 wait states
ds_bpermute_b32 v5, v0, v5, offset:12              // permute edge values
s_waitcnt 0                                        // wait for swizzle operation
v_accvgpr_write_b32 acc31, v5                      // 
s_mov_b64 s[32:33], 0xFFFFFFFFFFFFFFFF             // to restore all threads active
s_or_saveexec_b64 vcc, s[32:33]                    // all threads active
s_branch label_0148                                // done shifting


/******************************************/
/* shift d1 r=5 mb=1 vw0                  */
/******************************************/
label_0101: // r5 mb1 vw0 
s_mov_b32 s32, 4                                   // 
_v_cmpx_eq_u32 s[32:33], v4, s32                   // is thread in edge glvw region
v_and_b32 v0, 63, v[vgprSerial]                    // permute register between threads
v_lshlrev_b32 v0, 2, v0                            // permute register between threads
v_accvgpr_read_b32 v5, acc32                       // glvw 5 mb 1 tt1 0 r 0
s_nop 1                                            // v_accvgpr read vgpr after write vgpr: 2 wait states
ds_bpermute_b32 v5, v0, v5, offset:12              // permute edge values
s_waitcnt 0                                        // wait for swizzle operation
v_accvgpr_write_b32 acc32, v5                      // 
v_accvgpr_read_b32 v5, acc33                       // glvw 5 mb 1 tt1 1 r 0
s_nop 1                                            // v_accvgpr read vgpr after write vgpr: 2 wait states
ds_bpermute_b32 v5, v0, v5, offset:12              // permute edge values
s_waitcnt 0                                        // wait for swizzle operation
v_accvgpr_write_b32 acc33, v5                      // 
v_accvgpr_read_b32 v5, acc34                       // glvw 5 mb 1 tt1 2 r 0
s_nop 1                                            // v_accvgpr read vgpr after write vgpr: 2 wait states
ds_bpermute_b32 v5, v0, v5, offset:12              // permute edge values
s_waitcnt 0                                        // wait for swizzle operation
v_accvgpr_write_b32 acc34, v5                      // 
v_accvgpr_read_b32 v5, acc35                       // glvw 5 mb 1 tt1 3 r 0
s_nop 1                                            // v_accvgpr read vgpr after write vgpr: 2 wait states
ds_bpermute_b32 v5, v0, v5, offset:12              // permute edge values
s_waitcnt 0                                        // wait for swizzle operation
v_accvgpr_write_b32 acc35, v5                      // 
v_accvgpr_read_b32 v5, acc36                       // glvw 5 mb 1 tt1 4 r 0
s_nop 1                                            // v_accvgpr read vgpr after write vgpr: 2 wait states
ds_bpermute_b32 v5, v0, v5, offset:12              // permute edge values
s_waitcnt 0                                        // wait for swizzle operation
v_accvgpr_write_b32 acc36, v5                      // 
v_accvgpr_read_b32 v5, acc37                       // glvw 5 mb 1 tt1 5 r 0
s_nop 1                                            // v_accvgpr read vgpr after write vgpr: 2 wait states
ds_bpermute_b32 v5, v0, v5, offset:12              // permute edge values
s_waitcnt 0                                        // wait for swizzle operation
v_accvgpr_write_b32 acc37, v5                      // 
v_accvgpr_read_b32 v5, acc38                       // glvw 5 mb 1 tt1 6 r 0
s_nop 1                                            // v_accvgpr read vgpr after write vgpr: 2 wait states
ds_bpermute_b32 v5, v0, v5, offset:12              // permute edge values
s_waitcnt 0                                        // wait for swizzle operation
v_accvgpr_write_b32 acc38, v5                      // 
v_accvgpr_read_b32 v5, acc39                       // glvw 5 mb 1 tt1 7 r 0
s_nop 1                                            // v_accvgpr read vgpr after write vgpr: 2 wait states
ds_bpermute_b32 v5, v0, v5, offset:12              // permute edge values
s_waitcnt 0                                        // wait for swizzle operation
v_accvgpr_write_b32 acc39, v5                      // 
v_accvgpr_read_b32 v5, acc40                       // glvw 5 mb 1 tt1 8 r 0
s_nop 1                                            // v_accvgpr read vgpr after write vgpr: 2 wait states
ds_bpermute_b32 v5, v0, v5, offset:12              // permute edge values
s_waitcnt 0                                        // wait for swizzle operation
v_accvgpr_write_b32 acc40, v5                      // 
v_accvgpr_read_b32 v5, acc41                       // glvw 5 mb 1 tt1 9 r 0
s_nop 1                                            // v_accvgpr read vgpr after write vgpr: 2 wait states
ds_bpermute_b32 v5, v0, v5, offset:12              // permute edge values
s_waitcnt 0                                        // wait for swizzle operation
v_accvgpr_write_b32 acc41, v5                      // 
v_accvgpr_read_b32 v5, acc42                       // glvw 5 mb 1 tt1 10 r 0
s_nop 1                                            // v_accvgpr read vgpr after write vgpr: 2 wait states
ds_bpermute_b32 v5, v0, v5, offset:12              // permute edge values
s_waitcnt 0                                        // wait for swizzle operation
v_accvgpr_write_b32 acc42, v5                      // 
v_accvgpr_read_b32 v5, acc43                       // glvw 5 mb 1 tt1 11 r 0
s_nop 1                                            // v_accvgpr read vgpr after write vgpr: 2 wait states
ds_bpermute_b32 v5, v0, v5, offset:12              // permute edge values
s_waitcnt 0                                        // wait for swizzle operation
v_accvgpr_write_b32 acc43, v5                      // 
v_accvgpr_read_b32 v5, acc44                       // glvw 5 mb 1 tt1 12 r 0
s_nop 1                                            // v_accvgpr read vgpr after write vgpr: 2 wait states
ds_bpermute_b32 v5, v0, v5, offset:12              // permute edge values
s_waitcnt 0                                        // wait for swizzle operation
v_accvgpr_write_b32 acc44, v5                      // 
v_accvgpr_read_b32 v5, acc45                       // glvw 5 mb 1 tt1 13 r 0
s_nop 1                                            // v_accvgpr read vgpr after write vgpr: 2 wait states
ds_bpermute_b32 v5, v0, v5, offset:12              // permute edge values
s_waitcnt 0                                        // wait for swizzle operation
v_accvgpr_write_b32 acc45, v5                      // 
v_accvgpr_read_b32 v5, acc46                       // glvw 5 mb 1 tt1 14 r 0
s_nop 1                                            // v_accvgpr read vgpr after write vgpr: 2 wait states
ds_bpermute_b32 v5, v0, v5, offset:12              // permute edge values
s_waitcnt 0                                        // wait for swizzle operation
v_accvgpr_write_b32 acc46, v5                      // 
v_accvgpr_read_b32 v5, acc47                       // glvw 5 mb 1 tt1 15 r 0
s_nop 1                                            // v_accvgpr read vgpr after write vgpr: 2 wait states
ds_bpermute_b32 v5, v0, v5, offset:12              // permute edge values
s_waitcnt 0                                        // wait for swizzle operation
v_accvgpr_write_b32 acc47, v5                      // 
v_accvgpr_read_b32 v5, acc48                       // glvw 5 mb 1 tt1 16 r 0
s_nop 1                                            // v_accvgpr read vgpr after write vgpr: 2 wait states
ds_bpermute_b32 v5, v0, v5, offset:12              // permute edge values
s_waitcnt 0                                        // wait for swizzle operation
v_accvgpr_write_b32 acc48, v5                      // 
v_accvgpr_read_b32 v5, acc49                       // glvw 5 mb 1 tt1 17 r 0
s_nop 1                                            // v_accvgpr read vgpr after write vgpr: 2 wait states
ds_bpermute_b32 v5, v0, v5, offset:12              // permute edge values
s_waitcnt 0                                        // wait for swizzle operation
v_accvgpr_write_b32 acc49, v5                      // 
v_accvgpr_read_b32 v5, acc50                       // glvw 5 mb 1 tt1 18 r 0
s_nop 1                                            // v_accvgpr read vgpr after write vgpr: 2 wait states
ds_bpermute_b32 v5, v0, v5, offset:12              // permute edge values
s_waitcnt 0                                        // wait for swizzle operation
v_accvgpr_write_b32 acc50, v5                      // 
v_accvgpr_read_b32 v5, acc51                       // glvw 5 mb 1 tt1 19 r 0
s_nop 1                                            // v_accvgpr read vgpr after write vgpr: 2 wait states
ds_bpermute_b32 v5, v0, v5, offset:12              // permute edge values
s_waitcnt 0                                        // wait for swizzle operation
v_accvgpr_write_b32 acc51, v5                      // 
v_accvgpr_read_b32 v5, acc52                       // glvw 5 mb 1 tt1 20 r 0
s_nop 1                                            // v_accvgpr read vgpr after write vgpr: 2 wait states
ds_bpermute_b32 v5, v0, v5, offset:12              // permute edge values
s_waitcnt 0                                        // wait for swizzle operation
v_accvgpr_write_b32 acc52, v5                      // 
v_accvgpr_read_b32 v5, acc53                       // glvw 5 mb 1 tt1 21 r 0
s_nop 1                                            // v_accvgpr read vgpr after write vgpr: 2 wait states
ds_bpermute_b32 v5, v0, v5, offset:12              // permute edge values
s_waitcnt 0                                        // wait for swizzle operation
v_accvgpr_write_b32 acc53, v5                      // 
v_accvgpr_read_b32 v5, acc54                       // glvw 5 mb 1 tt1 22 r 0
s_nop 1                                            // v_accvgpr read vgpr after write vgpr: 2 wait states
ds_bpermute_b32 v5, v0, v5, offset:12              // permute edge values
s_waitcnt 0                                        // wait for swizzle operation
v_accvgpr_write_b32 acc54, v5                      // 
v_accvgpr_read_b32 v5, acc55                       // glvw 5 mb 1 tt1 23 r 0
s_nop 1                                            // v_accvgpr read vgpr after write vgpr: 2 wait states
ds_bpermute_b32 v5, v0, v5, offset:12              // permute edge values
s_waitcnt 0                                        // wait for swizzle operation
v_accvgpr_write_b32 acc55, v5                      // 
v_accvgpr_read_b32 v5, acc56                       // glvw 5 mb 1 tt1 24 r 0
s_nop 1                                            // v_accvgpr read vgpr after write vgpr: 2 wait states
ds_bpermute_b32 v5, v0, v5, offset:12              // permute edge values
s_waitcnt 0                                        // wait for swizzle operation
v_accvgpr_write_b32 acc56, v5                      // 
v_accvgpr_read_b32 v5, acc57                       // glvw 5 mb 1 tt1 25 r 0
s_nop 1                                            // v_accvgpr read vgpr after write vgpr: 2 wait states
ds_bpermute_b32 v5, v0, v5, offset:12              // permute edge values
s_waitcnt 0                                        // wait for swizzle operation
v_accvgpr_write_b32 acc57, v5                      // 
v_accvgpr_read_b32 v5, acc58                       // glvw 5 mb 1 tt1 26 r 0
s_nop 1                                            // v_accvgpr read vgpr after write vgpr: 2 wait states
ds_bpermute_b32 v5, v0, v5, offset:12              // permute edge values
s_waitcnt 0                                        // wait for swizzle operation
v_accvgpr_write_b32 acc58, v5                      // 
v_accvgpr_read_b32 v5, acc59                       // glvw 5 mb 1 tt1 27 r 0
s_nop 1                                            // v_accvgpr read vgpr after write vgpr: 2 wait states
ds_bpermute_b32 v5, v0, v5, offset:12              // permute edge values
s_waitcnt 0                                        // wait for swizzle operation
v_accvgpr_write_b32 acc59, v5                      // 
v_accvgpr_read_b32 v5, acc60                       // glvw 5 mb 1 tt1 28 r 0
s_nop 1                                            // v_accvgpr read vgpr after write vgpr: 2 wait states
ds_bpermute_b32 v5, v0, v5, offset:12              // permute edge values
s_waitcnt 0                                        // wait for swizzle operation
v_accvgpr_write_b32 acc60, v5                      // 
v_accvgpr_read_b32 v5, acc61                       // glvw 5 mb 1 tt1 29 r 0
s_nop 1                                            // v_accvgpr read vgpr after write vgpr: 2 wait states
ds_bpermute_b32 v5, v0, v5, offset:12              // permute edge values
s_waitcnt 0                                        // wait for swizzle operation
v_accvgpr_write_b32 acc61, v5                      // 
v_accvgpr_read_b32 v5, acc62                       // glvw 5 mb 1 tt1 30 r 0
s_nop 1                                            // v_accvgpr read vgpr after write vgpr: 2 wait states
ds_bpermute_b32 v5, v0, v5, offset:12              // permute edge values
s_waitcnt 0                                        // wait for swizzle operation
v_accvgpr_write_b32 acc62, v5                      // 
v_accvgpr_read_b32 v5, acc63                       // glvw 5 mb 1 tt1 31 r 0
s_nop 1                                            // v_accvgpr read vgpr after write vgpr: 2 wait states
ds_bpermute_b32 v5, v0, v5, offset:12              // permute edge values
s_waitcnt 0                                        // wait for swizzle operation
v_accvgpr_write_b32 acc63, v5                      // 
s_mov_b64 s[32:33], 0xFFFFFFFFFFFFFFFF             // to restore all threads active
s_or_saveexec_b64 vcc, s[32:33]                    // all threads active
s_branch label_0148                                // done shifting


/******************************************/
/* shift d1 r=5 mb=2 vw0                  */
/******************************************/
label_0103: // r5 mb2 vw0 
s_mov_b32 s32, 8                                   // 
_v_cmpx_eq_u32 s[32:33], v4, s32                   // is thread in edge glvw region
v_and_b32 v0, 63, v[vgprSerial]                    // permute register between threads
v_lshlrev_b32 v0, 2, v0                            // permute register between threads
v_accvgpr_read_b32 v5, acc64                       // glvw 5 mb 2 tt1 0 r 0
s_nop 1                                            // v_accvgpr read vgpr after write vgpr: 2 wait states
ds_bpermute_b32 v5, v0, v5, offset:12              // permute edge values
s_waitcnt 0                                        // wait for swizzle operation
v_accvgpr_write_b32 acc64, v5                      // 
v_accvgpr_read_b32 v5, acc65                       // glvw 5 mb 2 tt1 1 r 0
s_nop 1                                            // v_accvgpr read vgpr after write vgpr: 2 wait states
ds_bpermute_b32 v5, v0, v5, offset:12              // permute edge values
s_waitcnt 0                                        // wait for swizzle operation
v_accvgpr_write_b32 acc65, v5                      // 
v_accvgpr_read_b32 v5, acc66                       // glvw 5 mb 2 tt1 2 r 0
s_nop 1                                            // v_accvgpr read vgpr after write vgpr: 2 wait states
ds_bpermute_b32 v5, v0, v5, offset:12              // permute edge values
s_waitcnt 0                                        // wait for swizzle operation
v_accvgpr_write_b32 acc66, v5                      // 
v_accvgpr_read_b32 v5, acc67                       // glvw 5 mb 2 tt1 3 r 0
s_nop 1                                            // v_accvgpr read vgpr after write vgpr: 2 wait states
ds_bpermute_b32 v5, v0, v5, offset:12              // permute edge values
s_waitcnt 0                                        // wait for swizzle operation
v_accvgpr_write_b32 acc67, v5                      // 
v_accvgpr_read_b32 v5, acc68                       // glvw 5 mb 2 tt1 4 r 0
s_nop 1                                            // v_accvgpr read vgpr after write vgpr: 2 wait states
ds_bpermute_b32 v5, v0, v5, offset:12              // permute edge values
s_waitcnt 0                                        // wait for swizzle operation
v_accvgpr_write_b32 acc68, v5                      // 
v_accvgpr_read_b32 v5, acc69                       // glvw 5 mb 2 tt1 5 r 0
s_nop 1                                            // v_accvgpr read vgpr after write vgpr: 2 wait states
ds_bpermute_b32 v5, v0, v5, offset:12              // permute edge values
s_waitcnt 0                                        // wait for swizzle operation
v_accvgpr_write_b32 acc69, v5                      // 
v_accvgpr_read_b32 v5, acc70                       // glvw 5 mb 2 tt1 6 r 0
s_nop 1                                            // v_accvgpr read vgpr after write vgpr: 2 wait states
ds_bpermute_b32 v5, v0, v5, offset:12              // permute edge values
s_waitcnt 0                                        // wait for swizzle operation
v_accvgpr_write_b32 acc70, v5                      // 
v_accvgpr_read_b32 v5, acc71                       // glvw 5 mb 2 tt1 7 r 0
s_nop 1                                            // v_accvgpr read vgpr after write vgpr: 2 wait states
ds_bpermute_b32 v5, v0, v5, offset:12              // permute edge values
s_waitcnt 0                                        // wait for swizzle operation
v_accvgpr_write_b32 acc71, v5                      // 
v_accvgpr_read_b32 v5, acc72                       // glvw 5 mb 2 tt1 8 r 0
s_nop 1                                            // v_accvgpr read vgpr after write vgpr: 2 wait states
ds_bpermute_b32 v5, v0, v5, offset:12              // permute edge values
s_waitcnt 0                                        // wait for swizzle operation
v_accvgpr_write_b32 acc72, v5                      // 
v_accvgpr_read_b32 v5, acc73                       // glvw 5 mb 2 tt1 9 r 0
s_nop 1                                            // v_accvgpr read vgpr after write vgpr: 2 wait states
ds_bpermute_b32 v5, v0, v5, offset:12              // permute edge values
s_waitcnt 0                                        // wait for swizzle operation
v_accvgpr_write_b32 acc73, v5                      // 
v_accvgpr_read_b32 v5, acc74                       // glvw 5 mb 2 tt1 10 r 0
s_nop 1                                            // v_accvgpr read vgpr after write vgpr: 2 wait states
ds_bpermute_b32 v5, v0, v5, offset:12              // permute edge values
s_waitcnt 0                                        // wait for swizzle operation
v_accvgpr_write_b32 acc74, v5                      // 
v_accvgpr_read_b32 v5, acc75                       // glvw 5 mb 2 tt1 11 r 0
s_nop 1                                            // v_accvgpr read vgpr after write vgpr: 2 wait states
ds_bpermute_b32 v5, v0, v5, offset:12              // permute edge values
s_waitcnt 0                                        // wait for swizzle operation
v_accvgpr_write_b32 acc75, v5                      // 
v_accvgpr_read_b32 v5, acc76                       // glvw 5 mb 2 tt1 12 r 0
s_nop 1                                            // v_accvgpr read vgpr after write vgpr: 2 wait states
ds_bpermute_b32 v5, v0, v5, offset:12              // permute edge values
s_waitcnt 0                                        // wait for swizzle operation
v_accvgpr_write_b32 acc76, v5                      // 
v_accvgpr_read_b32 v5, acc77                       // glvw 5 mb 2 tt1 13 r 0
s_nop 1                                            // v_accvgpr read vgpr after write vgpr: 2 wait states
ds_bpermute_b32 v5, v0, v5, offset:12              // permute edge values
s_waitcnt 0                                        // wait for swizzle operation
v_accvgpr_write_b32 acc77, v5                      // 
v_accvgpr_read_b32 v5, acc78                       // glvw 5 mb 2 tt1 14 r 0
s_nop 1                                            // v_accvgpr read vgpr after write vgpr: 2 wait states
ds_bpermute_b32 v5, v0, v5, offset:12              // permute edge values
s_waitcnt 0                                        // wait for swizzle operation
v_accvgpr_write_b32 acc78, v5                      // 
v_accvgpr_read_b32 v5, acc79                       // glvw 5 mb 2 tt1 15 r 0
s_nop 1                                            // v_accvgpr read vgpr after write vgpr: 2 wait states
ds_bpermute_b32 v5, v0, v5, offset:12              // permute edge values
s_waitcnt 0                                        // wait for swizzle operation
v_accvgpr_write_b32 acc79, v5                      // 
v_accvgpr_read_b32 v5, acc80                       // glvw 5 mb 2 tt1 16 r 0
s_nop 1                                            // v_accvgpr read vgpr after write vgpr: 2 wait states
ds_bpermute_b32 v5, v0, v5, offset:12              // permute edge values
s_waitcnt 0                                        // wait for swizzle operation
v_accvgpr_write_b32 acc80, v5                      // 
v_accvgpr_read_b32 v5, acc81                       // glvw 5 mb 2 tt1 17 r 0
s_nop 1                                            // v_accvgpr read vgpr after write vgpr: 2 wait states
ds_bpermute_b32 v5, v0, v5, offset:12              // permute edge values
s_waitcnt 0                                        // wait for swizzle operation
v_accvgpr_write_b32 acc81, v5                      // 
v_accvgpr_read_b32 v5, acc82                       // glvw 5 mb 2 tt1 18 r 0
s_nop 1                                            // v_accvgpr read vgpr after write vgpr: 2 wait states
ds_bpermute_b32 v5, v0, v5, offset:12              // permute edge values
s_waitcnt 0                                        // wait for swizzle operation
v_accvgpr_write_b32 acc82, v5                      // 
v_accvgpr_read_b32 v5, acc83                       // glvw 5 mb 2 tt1 19 r 0
s_nop 1                                            // v_accvgpr read vgpr after write vgpr: 2 wait states
ds_bpermute_b32 v5, v0, v5, offset:12              // permute edge values
s_waitcnt 0                                        // wait for swizzle operation
v_accvgpr_write_b32 acc83, v5                      // 
v_accvgpr_read_b32 v5, acc84                       // glvw 5 mb 2 tt1 20 r 0
s_nop 1                                            // v_accvgpr read vgpr after write vgpr: 2 wait states
ds_bpermute_b32 v5, v0, v5, offset:12              // permute edge values
s_waitcnt 0                                        // wait for swizzle operation
v_accvgpr_write_b32 acc84, v5                      // 
v_accvgpr_read_b32 v5, acc85                       // glvw 5 mb 2 tt1 21 r 0
s_nop 1                                            // v_accvgpr read vgpr after write vgpr: 2 wait states
ds_bpermute_b32 v5, v0, v5, offset:12              // permute edge values
s_waitcnt 0                                        // wait for swizzle operation
v_accvgpr_write_b32 acc85, v5                      // 
v_accvgpr_read_b32 v5, acc86                       // glvw 5 mb 2 tt1 22 r 0
s_nop 1                                            // v_accvgpr read vgpr after write vgpr: 2 wait states
ds_bpermute_b32 v5, v0, v5, offset:12              // permute edge values
s_waitcnt 0                                        // wait for swizzle operation
v_accvgpr_write_b32 acc86, v5                      // 
v_accvgpr_read_b32 v5, acc87                       // glvw 5 mb 2 tt1 23 r 0
s_nop 1                                            // v_accvgpr read vgpr after write vgpr: 2 wait states
ds_bpermute_b32 v5, v0, v5, offset:12              // permute edge values
s_waitcnt 0                                        // wait for swizzle operation
v_accvgpr_write_b32 acc87, v5                      // 
v_accvgpr_read_b32 v5, acc88                       // glvw 5 mb 2 tt1 24 r 0
s_nop 1                                            // v_accvgpr read vgpr after write vgpr: 2 wait states
ds_bpermute_b32 v5, v0, v5, offset:12              // permute edge values
s_waitcnt 0                                        // wait for swizzle operation
v_accvgpr_write_b32 acc88, v5                      // 
v_accvgpr_read_b32 v5, acc89                       // glvw 5 mb 2 tt1 25 r 0
s_nop 1                                            // v_accvgpr read vgpr after write vgpr: 2 wait states
ds_bpermute_b32 v5, v0, v5, offset:12              // permute edge values
s_waitcnt 0                                        // wait for swizzle operation
v_accvgpr_write_b32 acc89, v5                      // 
v_accvgpr_read_b32 v5, acc90                       // glvw 5 mb 2 tt1 26 r 0
s_nop 1                                            // v_accvgpr read vgpr after write vgpr: 2 wait states
ds_bpermute_b32 v5, v0, v5, offset:12              // permute edge values
s_waitcnt 0                                        // wait for swizzle operation
v_accvgpr_write_b32 acc90, v5                      // 
v_accvgpr_read_b32 v5, acc91                       // glvw 5 mb 2 tt1 27 r 0
s_nop 1                                            // v_accvgpr read vgpr after write vgpr: 2 wait states
ds_bpermute_b32 v5, v0, v5, offset:12              // permute edge values
s_waitcnt 0                                        // wait for swizzle operation
v_accvgpr_write_b32 acc91, v5                      // 
v_accvgpr_read_b32 v5, acc92                       // glvw 5 mb 2 tt1 28 r 0
s_nop 1                                            // v_accvgpr read vgpr after write vgpr: 2 wait states
ds_bpermute_b32 v5, v0, v5, offset:12              // permute edge values
s_waitcnt 0                                        // wait for swizzle operation
v_accvgpr_write_b32 acc92, v5                      // 
v_accvgpr_read_b32 v5, acc93                       // glvw 5 mb 2 tt1 29 r 0
s_nop 1                                            // v_accvgpr read vgpr after write vgpr: 2 wait states
ds_bpermute_b32 v5, v0, v5, offset:12              // permute edge values
s_waitcnt 0                                        // wait for swizzle operation
v_accvgpr_write_b32 acc93, v5                      // 
v_accvgpr_read_b32 v5, acc94                       // glvw 5 mb 2 tt1 30 r 0
s_nop 1                                            // v_accvgpr read vgpr after write vgpr: 2 wait states
ds_bpermute_b32 v5, v0, v5, offset:12              // permute edge values
s_waitcnt 0                                        // wait for swizzle operation
v_accvgpr_write_b32 acc94, v5                      // 
v_accvgpr_read_b32 v5, acc95                       // glvw 5 mb 2 tt1 31 r 0
s_nop 1                                            // v_accvgpr read vgpr after write vgpr: 2 wait states
ds_bpermute_b32 v5, v0, v5, offset:12              // permute edge values
s_waitcnt 0                                        // wait for swizzle operation
v_accvgpr_write_b32 acc95, v5                      // 
s_mov_b64 s[32:33], 0xFFFFFFFFFFFFFFFF             // to restore all threads active
s_or_saveexec_b64 vcc, s[32:33]                    // all threads active
s_branch label_0148                                // done shifting


/******************************************/
/* shift d1 r=5 mb=3 vw0                  */
/******************************************/
label_0105: // r5 mb3 vw0 
s_mov_b32 s32, 12                                  // 
_v_cmpx_eq_u32 s[32:33], v4, s32                   // is thread in edge glvw region
v_and_b32 v0, 63, v[vgprSerial]                    // permute register between threads
v_lshlrev_b32 v0, 2, v0                            // permute register between threads
v_accvgpr_read_b32 v5, acc96                       // glvw 5 mb 3 tt1 0 r 0
s_nop 1                                            // v_accvgpr read vgpr after write vgpr: 2 wait states
ds_bpermute_b32 v5, v0, v5, offset:12              // permute edge values
s_waitcnt 0                                        // wait for swizzle operation
v_accvgpr_write_b32 acc96, v5                      // 
v_accvgpr_read_b32 v5, acc97                       // glvw 5 mb 3 tt1 1 r 0
s_nop 1                                            // v_accvgpr read vgpr after write vgpr: 2 wait states
ds_bpermute_b32 v5, v0, v5, offset:12              // permute edge values
s_waitcnt 0                                        // wait for swizzle operation
v_accvgpr_write_b32 acc97, v5                      // 
v_accvgpr_read_b32 v5, acc98                       // glvw 5 mb 3 tt1 2 r 0
s_nop 1                                            // v_accvgpr read vgpr after write vgpr: 2 wait states
ds_bpermute_b32 v5, v0, v5, offset:12              // permute edge values
s_waitcnt 0                                        // wait for swizzle operation
v_accvgpr_write_b32 acc98, v5                      // 
v_accvgpr_read_b32 v5, acc99                       // glvw 5 mb 3 tt1 3 r 0
s_nop 1                                            // v_accvgpr read vgpr after write vgpr: 2 wait states
ds_bpermute_b32 v5, v0, v5, offset:12              // permute edge values
s_waitcnt 0                                        // wait for swizzle operation
v_accvgpr_write_b32 acc99, v5                      // 
v_accvgpr_read_b32 v5, acc100                      // glvw 5 mb 3 tt1 4 r 0
s_nop 1                                            // v_accvgpr read vgpr after write vgpr: 2 wait states
ds_bpermute_b32 v5, v0, v5, offset:12              // permute edge values
s_waitcnt 0                                        // wait for swizzle operation
v_accvgpr_write_b32 acc100, v5                     // 
v_accvgpr_read_b32 v5, acc101                      // glvw 5 mb 3 tt1 5 r 0
s_nop 1                                            // v_accvgpr read vgpr after write vgpr: 2 wait states
ds_bpermute_b32 v5, v0, v5, offset:12              // permute edge values
s_waitcnt 0                                        // wait for swizzle operation
v_accvgpr_write_b32 acc101, v5                     // 
v_accvgpr_read_b32 v5, acc102                      // glvw 5 mb 3 tt1 6 r 0
s_nop 1                                            // v_accvgpr read vgpr after write vgpr: 2 wait states
ds_bpermute_b32 v5, v0, v5, offset:12              // permute edge values
s_waitcnt 0                                        // wait for swizzle operation
v_accvgpr_write_b32 acc102, v5                     // 
v_accvgpr_read_b32 v5, acc103                      // glvw 5 mb 3 tt1 7 r 0
s_nop 1                                            // v_accvgpr read vgpr after write vgpr: 2 wait states
ds_bpermute_b32 v5, v0, v5, offset:12              // permute edge values
s_waitcnt 0                                        // wait for swizzle operation
v_accvgpr_write_b32 acc103, v5                     // 
v_accvgpr_read_b32 v5, acc104                      // glvw 5 mb 3 tt1 8 r 0
s_nop 1                                            // v_accvgpr read vgpr after write vgpr: 2 wait states
ds_bpermute_b32 v5, v0, v5, offset:12              // permute edge values
s_waitcnt 0                                        // wait for swizzle operation
v_accvgpr_write_b32 acc104, v5                     // 
v_accvgpr_read_b32 v5, acc105                      // glvw 5 mb 3 tt1 9 r 0
s_nop 1                                            // v_accvgpr read vgpr after write vgpr: 2 wait states
ds_bpermute_b32 v5, v0, v5, offset:12              // permute edge values
s_waitcnt 0                                        // wait for swizzle operation
v_accvgpr_write_b32 acc105, v5                     // 
v_accvgpr_read_b32 v5, acc106                      // glvw 5 mb 3 tt1 10 r 0
s_nop 1                                            // v_accvgpr read vgpr after write vgpr: 2 wait states
ds_bpermute_b32 v5, v0, v5, offset:12              // permute edge values
s_waitcnt 0                                        // wait for swizzle operation
v_accvgpr_write_b32 acc106, v5                     // 
v_accvgpr_read_b32 v5, acc107                      // glvw 5 mb 3 tt1 11 r 0
s_nop 1                                            // v_accvgpr read vgpr after write vgpr: 2 wait states
ds_bpermute_b32 v5, v0, v5, offset:12              // permute edge values
s_waitcnt 0                                        // wait for swizzle operation
v_accvgpr_write_b32 acc107, v5                     // 
v_accvgpr_read_b32 v5, acc108                      // glvw 5 mb 3 tt1 12 r 0
s_nop 1                                            // v_accvgpr read vgpr after write vgpr: 2 wait states
ds_bpermute_b32 v5, v0, v5, offset:12              // permute edge values
s_waitcnt 0                                        // wait for swizzle operation
v_accvgpr_write_b32 acc108, v5                     // 
v_accvgpr_read_b32 v5, acc109                      // glvw 5 mb 3 tt1 13 r 0
s_nop 1                                            // v_accvgpr read vgpr after write vgpr: 2 wait states
ds_bpermute_b32 v5, v0, v5, offset:12              // permute edge values
s_waitcnt 0                                        // wait for swizzle operation
v_accvgpr_write_b32 acc109, v5                     // 
v_accvgpr_read_b32 v5, acc110                      // glvw 5 mb 3 tt1 14 r 0
s_nop 1                                            // v_accvgpr read vgpr after write vgpr: 2 wait states
ds_bpermute_b32 v5, v0, v5, offset:12              // permute edge values
s_waitcnt 0                                        // wait for swizzle operation
v_accvgpr_write_b32 acc110, v5                     // 
v_accvgpr_read_b32 v5, acc111                      // glvw 5 mb 3 tt1 15 r 0
s_nop 1                                            // v_accvgpr read vgpr after write vgpr: 2 wait states
ds_bpermute_b32 v5, v0, v5, offset:12              // permute edge values
s_waitcnt 0                                        // wait for swizzle operation
v_accvgpr_write_b32 acc111, v5                     // 
v_accvgpr_read_b32 v5, acc112                      // glvw 5 mb 3 tt1 16 r 0
s_nop 1                                            // v_accvgpr read vgpr after write vgpr: 2 wait states
ds_bpermute_b32 v5, v0, v5, offset:12              // permute edge values
s_waitcnt 0                                        // wait for swizzle operation
v_accvgpr_write_b32 acc112, v5                     // 
v_accvgpr_read_b32 v5, acc113                      // glvw 5 mb 3 tt1 17 r 0
s_nop 1                                            // v_accvgpr read vgpr after write vgpr: 2 wait states
ds_bpermute_b32 v5, v0, v5, offset:12              // permute edge values
s_waitcnt 0                                        // wait for swizzle operation
v_accvgpr_write_b32 acc113, v5                     // 
v_accvgpr_read_b32 v5, acc114                      // glvw 5 mb 3 tt1 18 r 0
s_nop 1                                            // v_accvgpr read vgpr after write vgpr: 2 wait states
ds_bpermute_b32 v5, v0, v5, offset:12              // permute edge values
s_waitcnt 0                                        // wait for swizzle operation
v_accvgpr_write_b32 acc114, v5                     // 
v_accvgpr_read_b32 v5, acc115                      // glvw 5 mb 3 tt1 19 r 0
s_nop 1                                            // v_accvgpr read vgpr after write vgpr: 2 wait states
ds_bpermute_b32 v5, v0, v5, offset:12              // permute edge values
s_waitcnt 0                                        // wait for swizzle operation
v_accvgpr_write_b32 acc115, v5                     // 
v_accvgpr_read_b32 v5, acc116                      // glvw 5 mb 3 tt1 20 r 0
s_nop 1                                            // v_accvgpr read vgpr after write vgpr: 2 wait states
ds_bpermute_b32 v5, v0, v5, offset:12              // permute edge values
s_waitcnt 0                                        // wait for swizzle operation
v_accvgpr_write_b32 acc116, v5                     // 
v_accvgpr_read_b32 v5, acc117                      // glvw 5 mb 3 tt1 21 r 0
s_nop 1                                            // v_accvgpr read vgpr after write vgpr: 2 wait states
ds_bpermute_b32 v5, v0, v5, offset:12              // permute edge values
s_waitcnt 0                                        // wait for swizzle operation
v_accvgpr_write_b32 acc117, v5                     // 
v_accvgpr_read_b32 v5, acc118                      // glvw 5 mb 3 tt1 22 r 0
s_nop 1                                            // v_accvgpr read vgpr after write vgpr: 2 wait states
ds_bpermute_b32 v5, v0, v5, offset:12              // permute edge values
s_waitcnt 0                                        // wait for swizzle operation
v_accvgpr_write_b32 acc118, v5                     // 
v_accvgpr_read_b32 v5, acc119                      // glvw 5 mb 3 tt1 23 r 0
s_nop 1                                            // v_accvgpr read vgpr after write vgpr: 2 wait states
ds_bpermute_b32 v5, v0, v5, offset:12              // permute edge values
s_waitcnt 0                                        // wait for swizzle operation
v_accvgpr_write_b32 acc119, v5                     // 
v_accvgpr_read_b32 v5, acc120                      // glvw 5 mb 3 tt1 24 r 0
s_nop 1                                            // v_accvgpr read vgpr after write vgpr: 2 wait states
ds_bpermute_b32 v5, v0, v5, offset:12              // permute edge values
s_waitcnt 0                                        // wait for swizzle operation
v_accvgpr_write_b32 acc120, v5                     // 
v_accvgpr_read_b32 v5, acc121                      // glvw 5 mb 3 tt1 25 r 0
s_nop 1                                            // v_accvgpr read vgpr after write vgpr: 2 wait states
ds_bpermute_b32 v5, v0, v5, offset:12              // permute edge values
s_waitcnt 0                                        // wait for swizzle operation
v_accvgpr_write_b32 acc121, v5                     // 
v_accvgpr_read_b32 v5, acc122                      // glvw 5 mb 3 tt1 26 r 0
s_nop 1                                            // v_accvgpr read vgpr after write vgpr: 2 wait states
ds_bpermute_b32 v5, v0, v5, offset:12              // permute edge values
s_waitcnt 0                                        // wait for swizzle operation
v_accvgpr_write_b32 acc122, v5                     // 
v_accvgpr_read_b32 v5, acc123                      // glvw 5 mb 3 tt1 27 r 0
s_nop 1                                            // v_accvgpr read vgpr after write vgpr: 2 wait states
ds_bpermute_b32 v5, v0, v5, offset:12              // permute edge values
s_waitcnt 0                                        // wait for swizzle operation
v_accvgpr_write_b32 acc123, v5                     // 
v_accvgpr_read_b32 v5, acc124                      // glvw 5 mb 3 tt1 28 r 0
s_nop 1                                            // v_accvgpr read vgpr after write vgpr: 2 wait states
ds_bpermute_b32 v5, v0, v5, offset:12              // permute edge values
s_waitcnt 0                                        // wait for swizzle operation
v_accvgpr_write_b32 acc124, v5                     // 
v_accvgpr_read_b32 v5, acc125                      // glvw 5 mb 3 tt1 29 r 0
s_nop 1                                            // v_accvgpr read vgpr after write vgpr: 2 wait states
ds_bpermute_b32 v5, v0, v5, offset:12              // permute edge values
s_waitcnt 0                                        // wait for swizzle operation
v_accvgpr_write_b32 acc125, v5                     // 
v_accvgpr_read_b32 v5, acc126                      // glvw 5 mb 3 tt1 30 r 0
s_nop 1                                            // v_accvgpr read vgpr after write vgpr: 2 wait states
ds_bpermute_b32 v5, v0, v5, offset:12              // permute edge values
s_waitcnt 0                                        // wait for swizzle operation
v_accvgpr_write_b32 acc126, v5                     // 
v_accvgpr_read_b32 v5, acc127                      // glvw 5 mb 3 tt1 31 r 0
s_nop 1                                            // v_accvgpr read vgpr after write vgpr: 2 wait states
ds_bpermute_b32 v5, v0, v5, offset:12              // permute edge values
s_waitcnt 0                                        // wait for swizzle operation
v_accvgpr_write_b32 acc127, v5                     // 
s_mov_b64 s[32:33], 0xFFFFFFFFFFFFFFFF             // to restore all threads active
s_or_saveexec_b64 vcc, s[32:33]                    // all threads active
s_branch label_0148                                // done shifting


/******************************************/
/* shift d1 r=5 mb=4 vw0                  */
/******************************************/
label_0107: // r5 mb4 vw0 
s_mov_b32 s32, 16                                  // 
_v_cmpx_eq_u32 s[32:33], v4, s32                   // is thread in edge glvw region
v_and_b32 v0, 63, v[vgprSerial]                    // permute register between threads
v_lshlrev_b32 v0, 2, v0                            // permute register between threads
v_accvgpr_read_b32 v5, acc128                      // glvw 5 mb 4 tt1 0 r 0
s_nop 1                                            // v_accvgpr read vgpr after write vgpr: 2 wait states
ds_bpermute_b32 v5, v0, v5, offset:12              // permute edge values
s_waitcnt 0                                        // wait for swizzle operation
v_accvgpr_write_b32 acc128, v5                     // 
v_accvgpr_read_b32 v5, acc129                      // glvw 5 mb 4 tt1 1 r 0
s_nop 1                                            // v_accvgpr read vgpr after write vgpr: 2 wait states
ds_bpermute_b32 v5, v0, v5, offset:12              // permute edge values
s_waitcnt 0                                        // wait for swizzle operation
v_accvgpr_write_b32 acc129, v5                     // 
v_accvgpr_read_b32 v5, acc130                      // glvw 5 mb 4 tt1 2 r 0
s_nop 1                                            // v_accvgpr read vgpr after write vgpr: 2 wait states
ds_bpermute_b32 v5, v0, v5, offset:12              // permute edge values
s_waitcnt 0                                        // wait for swizzle operation
v_accvgpr_write_b32 acc130, v5                     // 
v_accvgpr_read_b32 v5, acc131                      // glvw 5 mb 4 tt1 3 r 0
s_nop 1                                            // v_accvgpr read vgpr after write vgpr: 2 wait states
ds_bpermute_b32 v5, v0, v5, offset:12              // permute edge values
s_waitcnt 0                                        // wait for swizzle operation
v_accvgpr_write_b32 acc131, v5                     // 
v_accvgpr_read_b32 v5, acc132                      // glvw 5 mb 4 tt1 4 r 0
s_nop 1                                            // v_accvgpr read vgpr after write vgpr: 2 wait states
ds_bpermute_b32 v5, v0, v5, offset:12              // permute edge values
s_waitcnt 0                                        // wait for swizzle operation
v_accvgpr_write_b32 acc132, v5                     // 
v_accvgpr_read_b32 v5, acc133                      // glvw 5 mb 4 tt1 5 r 0
s_nop 1                                            // v_accvgpr read vgpr after write vgpr: 2 wait states
ds_bpermute_b32 v5, v0, v5, offset:12              // permute edge values
s_waitcnt 0                                        // wait for swizzle operation
v_accvgpr_write_b32 acc133, v5                     // 
v_accvgpr_read_b32 v5, acc134                      // glvw 5 mb 4 tt1 6 r 0
s_nop 1                                            // v_accvgpr read vgpr after write vgpr: 2 wait states
ds_bpermute_b32 v5, v0, v5, offset:12              // permute edge values
s_waitcnt 0                                        // wait for swizzle operation
v_accvgpr_write_b32 acc134, v5                     // 
v_accvgpr_read_b32 v5, acc135                      // glvw 5 mb 4 tt1 7 r 0
s_nop 1                                            // v_accvgpr read vgpr after write vgpr: 2 wait states
ds_bpermute_b32 v5, v0, v5, offset:12              // permute edge values
s_waitcnt 0                                        // wait for swizzle operation
v_accvgpr_write_b32 acc135, v5                     // 
v_accvgpr_read_b32 v5, acc136                      // glvw 5 mb 4 tt1 8 r 0
s_nop 1                                            // v_accvgpr read vgpr after write vgpr: 2 wait states
ds_bpermute_b32 v5, v0, v5, offset:12              // permute edge values
s_waitcnt 0                                        // wait for swizzle operation
v_accvgpr_write_b32 acc136, v5                     // 
v_accvgpr_read_b32 v5, acc137                      // glvw 5 mb 4 tt1 9 r 0
s_nop 1                                            // v_accvgpr read vgpr after write vgpr: 2 wait states
ds_bpermute_b32 v5, v0, v5, offset:12              // permute edge values
s_waitcnt 0                                        // wait for swizzle operation
v_accvgpr_write_b32 acc137, v5                     // 
v_accvgpr_read_b32 v5, acc138                      // glvw 5 mb 4 tt1 10 r 0
s_nop 1                                            // v_accvgpr read vgpr after write vgpr: 2 wait states
ds_bpermute_b32 v5, v0, v5, offset:12              // permute edge values
s_waitcnt 0                                        // wait for swizzle operation
v_accvgpr_write_b32 acc138, v5                     // 
v_accvgpr_read_b32 v5, acc139                      // glvw 5 mb 4 tt1 11 r 0
s_nop 1                                            // v_accvgpr read vgpr after write vgpr: 2 wait states
ds_bpermute_b32 v5, v0, v5, offset:12              // permute edge values
s_waitcnt 0                                        // wait for swizzle operation
v_accvgpr_write_b32 acc139, v5                     // 
v_accvgpr_read_b32 v5, acc140                      // glvw 5 mb 4 tt1 12 r 0
s_nop 1                                            // v_accvgpr read vgpr after write vgpr: 2 wait states
ds_bpermute_b32 v5, v0, v5, offset:12              // permute edge values
s_waitcnt 0                                        // wait for swizzle operation
v_accvgpr_write_b32 acc140, v5                     // 
v_accvgpr_read_b32 v5, acc141                      // glvw 5 mb 4 tt1 13 r 0
s_nop 1                                            // v_accvgpr read vgpr after write vgpr: 2 wait states
ds_bpermute_b32 v5, v0, v5, offset:12              // permute edge values
s_waitcnt 0                                        // wait for swizzle operation
v_accvgpr_write_b32 acc141, v5                     // 
v_accvgpr_read_b32 v5, acc142                      // glvw 5 mb 4 tt1 14 r 0
s_nop 1                                            // v_accvgpr read vgpr after write vgpr: 2 wait states
ds_bpermute_b32 v5, v0, v5, offset:12              // permute edge values
s_waitcnt 0                                        // wait for swizzle operation
v_accvgpr_write_b32 acc142, v5                     // 
v_accvgpr_read_b32 v5, acc143                      // glvw 5 mb 4 tt1 15 r 0
s_nop 1                                            // v_accvgpr read vgpr after write vgpr: 2 wait states
ds_bpermute_b32 v5, v0, v5, offset:12              // permute edge values
s_waitcnt 0                                        // wait for swizzle operation
v_accvgpr_write_b32 acc143, v5                     // 
v_accvgpr_read_b32 v5, acc144                      // glvw 5 mb 4 tt1 16 r 0
s_nop 1                                            // v_accvgpr read vgpr after write vgpr: 2 wait states
ds_bpermute_b32 v5, v0, v5, offset:12              // permute edge values
s_waitcnt 0                                        // wait for swizzle operation
v_accvgpr_write_b32 acc144, v5                     // 
v_accvgpr_read_b32 v5, acc145                      // glvw 5 mb 4 tt1 17 r 0
s_nop 1                                            // v_accvgpr read vgpr after write vgpr: 2 wait states
ds_bpermute_b32 v5, v0, v5, offset:12              // permute edge values
s_waitcnt 0                                        // wait for swizzle operation
v_accvgpr_write_b32 acc145, v5                     // 
v_accvgpr_read_b32 v5, acc146                      // glvw 5 mb 4 tt1 18 r 0
s_nop 1                                            // v_accvgpr read vgpr after write vgpr: 2 wait states
ds_bpermute_b32 v5, v0, v5, offset:12              // permute edge values
s_waitcnt 0                                        // wait for swizzle operation
v_accvgpr_write_b32 acc146, v5                     // 
v_accvgpr_read_b32 v5, acc147                      // glvw 5 mb 4 tt1 19 r 0
s_nop 1                                            // v_accvgpr read vgpr after write vgpr: 2 wait states
ds_bpermute_b32 v5, v0, v5, offset:12              // permute edge values
s_waitcnt 0                                        // wait for swizzle operation
v_accvgpr_write_b32 acc147, v5                     // 
v_accvgpr_read_b32 v5, acc148                      // glvw 5 mb 4 tt1 20 r 0
s_nop 1                                            // v_accvgpr read vgpr after write vgpr: 2 wait states
ds_bpermute_b32 v5, v0, v5, offset:12              // permute edge values
s_waitcnt 0                                        // wait for swizzle operation
v_accvgpr_write_b32 acc148, v5                     // 
v_accvgpr_read_b32 v5, acc149                      // glvw 5 mb 4 tt1 21 r 0
s_nop 1                                            // v_accvgpr read vgpr after write vgpr: 2 wait states
ds_bpermute_b32 v5, v0, v5, offset:12              // permute edge values
s_waitcnt 0                                        // wait for swizzle operation
v_accvgpr_write_b32 acc149, v5                     // 
v_accvgpr_read_b32 v5, acc150                      // glvw 5 mb 4 tt1 22 r 0
s_nop 1                                            // v_accvgpr read vgpr after write vgpr: 2 wait states
ds_bpermute_b32 v5, v0, v5, offset:12              // permute edge values
s_waitcnt 0                                        // wait for swizzle operation
v_accvgpr_write_b32 acc150, v5                     // 
v_accvgpr_read_b32 v5, acc151                      // glvw 5 mb 4 tt1 23 r 0
s_nop 1                                            // v_accvgpr read vgpr after write vgpr: 2 wait states
ds_bpermute_b32 v5, v0, v5, offset:12              // permute edge values
s_waitcnt 0                                        // wait for swizzle operation
v_accvgpr_write_b32 acc151, v5                     // 
v_accvgpr_read_b32 v5, acc152                      // glvw 5 mb 4 tt1 24 r 0
s_nop 1                                            // v_accvgpr read vgpr after write vgpr: 2 wait states
ds_bpermute_b32 v5, v0, v5, offset:12              // permute edge values
s_waitcnt 0                                        // wait for swizzle operation
v_accvgpr_write_b32 acc152, v5                     // 
v_accvgpr_read_b32 v5, acc153                      // glvw 5 mb 4 tt1 25 r 0
s_nop 1                                            // v_accvgpr read vgpr after write vgpr: 2 wait states
ds_bpermute_b32 v5, v0, v5, offset:12              // permute edge values
s_waitcnt 0                                        // wait for swizzle operation
v_accvgpr_write_b32 acc153, v5                     // 
v_accvgpr_read_b32 v5, acc154                      // glvw 5 mb 4 tt1 26 r 0
s_nop 1                                            // v_accvgpr read vgpr after write vgpr: 2 wait states
ds_bpermute_b32 v5, v0, v5, offset:12              // permute edge values
s_waitcnt 0                                        // wait for swizzle operation
v_accvgpr_write_b32 acc154, v5                     // 
v_accvgpr_read_b32 v5, acc155                      // glvw 5 mb 4 tt1 27 r 0
s_nop 1                                            // v_accvgpr read vgpr after write vgpr: 2 wait states
ds_bpermute_b32 v5, v0, v5, offset:12              // permute edge values
s_waitcnt 0                                        // wait for swizzle operation
v_accvgpr_write_b32 acc155, v5                     // 
v_accvgpr_read_b32 v5, acc156                      // glvw 5 mb 4 tt1 28 r 0
s_nop 1                                            // v_accvgpr read vgpr after write vgpr: 2 wait states
ds_bpermute_b32 v5, v0, v5, offset:12              // permute edge values
s_waitcnt 0                                        // wait for swizzle operation
v_accvgpr_write_b32 acc156, v5                     // 
v_accvgpr_read_b32 v5, acc157                      // glvw 5 mb 4 tt1 29 r 0
s_nop 1                                            // v_accvgpr read vgpr after write vgpr: 2 wait states
ds_bpermute_b32 v5, v0, v5, offset:12              // permute edge values
s_waitcnt 0                                        // wait for swizzle operation
v_accvgpr_write_b32 acc157, v5                     // 
v_accvgpr_read_b32 v5, acc158                      // glvw 5 mb 4 tt1 30 r 0
s_nop 1                                            // v_accvgpr read vgpr after write vgpr: 2 wait states
ds_bpermute_b32 v5, v0, v5, offset:12              // permute edge values
s_waitcnt 0                                        // wait for swizzle operation
v_accvgpr_write_b32 acc158, v5                     // 
v_accvgpr_read_b32 v5, acc159                      // glvw 5 mb 4 tt1 31 r 0
s_nop 1                                            // v_accvgpr read vgpr after write vgpr: 2 wait states
ds_bpermute_b32 v5, v0, v5, offset:12              // permute edge values
s_waitcnt 0                                        // wait for swizzle operation
v_accvgpr_write_b32 acc159, v5                     // 
s_mov_b64 s[32:33], 0xFFFFFFFFFFFFFFFF             // to restore all threads active
s_or_saveexec_b64 vcc, s[32:33]                    // all threads active
s_branch label_0148                                // done shifting


/******************************************/
/* shift d1 r=5 mb=5 vw0                  */
/******************************************/
label_0109: // r5 mb5 vw0 
s_mov_b32 s32, 20                                  // 
_v_cmpx_eq_u32 s[32:33], v4, s32                   // is thread in edge glvw region
v_and_b32 v0, 63, v[vgprSerial]                    // permute register between threads
v_lshlrev_b32 v0, 2, v0                            // permute register between threads
v_accvgpr_read_b32 v5, acc160                      // glvw 5 mb 5 tt1 0 r 0
s_nop 1                                            // v_accvgpr read vgpr after write vgpr: 2 wait states
ds_bpermute_b32 v5, v0, v5, offset:12              // permute edge values
s_waitcnt 0                                        // wait for swizzle operation
v_accvgpr_write_b32 acc160, v5                     // 
v_accvgpr_read_b32 v5, acc161                      // glvw 5 mb 5 tt1 1 r 0
s_nop 1                                            // v_accvgpr read vgpr after write vgpr: 2 wait states
ds_bpermute_b32 v5, v0, v5, offset:12              // permute edge values
s_waitcnt 0                                        // wait for swizzle operation
v_accvgpr_write_b32 acc161, v5                     // 
v_accvgpr_read_b32 v5, acc162                      // glvw 5 mb 5 tt1 2 r 0
s_nop 1                                            // v_accvgpr read vgpr after write vgpr: 2 wait states
ds_bpermute_b32 v5, v0, v5, offset:12              // permute edge values
s_waitcnt 0                                        // wait for swizzle operation
v_accvgpr_write_b32 acc162, v5                     // 
v_accvgpr_read_b32 v5, acc163                      // glvw 5 mb 5 tt1 3 r 0
s_nop 1                                            // v_accvgpr read vgpr after write vgpr: 2 wait states
ds_bpermute_b32 v5, v0, v5, offset:12              // permute edge values
s_waitcnt 0                                        // wait for swizzle operation
v_accvgpr_write_b32 acc163, v5                     // 
v_accvgpr_read_b32 v5, acc164                      // glvw 5 mb 5 tt1 4 r 0
s_nop 1                                            // v_accvgpr read vgpr after write vgpr: 2 wait states
ds_bpermute_b32 v5, v0, v5, offset:12              // permute edge values
s_waitcnt 0                                        // wait for swizzle operation
v_accvgpr_write_b32 acc164, v5                     // 
v_accvgpr_read_b32 v5, acc165                      // glvw 5 mb 5 tt1 5 r 0
s_nop 1                                            // v_accvgpr read vgpr after write vgpr: 2 wait states
ds_bpermute_b32 v5, v0, v5, offset:12              // permute edge values
s_waitcnt 0                                        // wait for swizzle operation
v_accvgpr_write_b32 acc165, v5                     // 
v_accvgpr_read_b32 v5, acc166                      // glvw 5 mb 5 tt1 6 r 0
s_nop 1                                            // v_accvgpr read vgpr after write vgpr: 2 wait states
ds_bpermute_b32 v5, v0, v5, offset:12              // permute edge values
s_waitcnt 0                                        // wait for swizzle operation
v_accvgpr_write_b32 acc166, v5                     // 
v_accvgpr_read_b32 v5, acc167                      // glvw 5 mb 5 tt1 7 r 0
s_nop 1                                            // v_accvgpr read vgpr after write vgpr: 2 wait states
ds_bpermute_b32 v5, v0, v5, offset:12              // permute edge values
s_waitcnt 0                                        // wait for swizzle operation
v_accvgpr_write_b32 acc167, v5                     // 
v_accvgpr_read_b32 v5, acc168                      // glvw 5 mb 5 tt1 8 r 0
s_nop 1                                            // v_accvgpr read vgpr after write vgpr: 2 wait states
ds_bpermute_b32 v5, v0, v5, offset:12              // permute edge values
s_waitcnt 0                                        // wait for swizzle operation
v_accvgpr_write_b32 acc168, v5                     // 
v_accvgpr_read_b32 v5, acc169                      // glvw 5 mb 5 tt1 9 r 0
s_nop 1                                            // v_accvgpr read vgpr after write vgpr: 2 wait states
ds_bpermute_b32 v5, v0, v5, offset:12              // permute edge values
s_waitcnt 0                                        // wait for swizzle operation
v_accvgpr_write_b32 acc169, v5                     // 
v_accvgpr_read_b32 v5, acc170                      // glvw 5 mb 5 tt1 10 r 0
s_nop 1                                            // v_accvgpr read vgpr after write vgpr: 2 wait states
ds_bpermute_b32 v5, v0, v5, offset:12              // permute edge values
s_waitcnt 0                                        // wait for swizzle operation
v_accvgpr_write_b32 acc170, v5                     // 
v_accvgpr_read_b32 v5, acc171                      // glvw 5 mb 5 tt1 11 r 0
s_nop 1                                            // v_accvgpr read vgpr after write vgpr: 2 wait states
ds_bpermute_b32 v5, v0, v5, offset:12              // permute edge values
s_waitcnt 0                                        // wait for swizzle operation
v_accvgpr_write_b32 acc171, v5                     // 
v_accvgpr_read_b32 v5, acc172                      // glvw 5 mb 5 tt1 12 r 0
s_nop 1                                            // v_accvgpr read vgpr after write vgpr: 2 wait states
ds_bpermute_b32 v5, v0, v5, offset:12              // permute edge values
s_waitcnt 0                                        // wait for swizzle operation
v_accvgpr_write_b32 acc172, v5                     // 
v_accvgpr_read_b32 v5, acc173                      // glvw 5 mb 5 tt1 13 r 0
s_nop 1                                            // v_accvgpr read vgpr after write vgpr: 2 wait states
ds_bpermute_b32 v5, v0, v5, offset:12              // permute edge values
s_waitcnt 0                                        // wait for swizzle operation
v_accvgpr_write_b32 acc173, v5                     // 
v_accvgpr_read_b32 v5, acc174                      // glvw 5 mb 5 tt1 14 r 0
s_nop 1                                            // v_accvgpr read vgpr after write vgpr: 2 wait states
ds_bpermute_b32 v5, v0, v5, offset:12              // permute edge values
s_waitcnt 0                                        // wait for swizzle operation
v_accvgpr_write_b32 acc174, v5                     // 
v_accvgpr_read_b32 v5, acc175                      // glvw 5 mb 5 tt1 15 r 0
s_nop 1                                            // v_accvgpr read vgpr after write vgpr: 2 wait states
ds_bpermute_b32 v5, v0, v5, offset:12              // permute edge values
s_waitcnt 0                                        // wait for swizzle operation
v_accvgpr_write_b32 acc175, v5                     // 
v_accvgpr_read_b32 v5, acc176                      // glvw 5 mb 5 tt1 16 r 0
s_nop 1                                            // v_accvgpr read vgpr after write vgpr: 2 wait states
ds_bpermute_b32 v5, v0, v5, offset:12              // permute edge values
s_waitcnt 0                                        // wait for swizzle operation
v_accvgpr_write_b32 acc176, v5                     // 
v_accvgpr_read_b32 v5, acc177                      // glvw 5 mb 5 tt1 17 r 0
s_nop 1                                            // v_accvgpr read vgpr after write vgpr: 2 wait states
ds_bpermute_b32 v5, v0, v5, offset:12              // permute edge values
s_waitcnt 0                                        // wait for swizzle operation
v_accvgpr_write_b32 acc177, v5                     // 
v_accvgpr_read_b32 v5, acc178                      // glvw 5 mb 5 tt1 18 r 0
s_nop 1                                            // v_accvgpr read vgpr after write vgpr: 2 wait states
ds_bpermute_b32 v5, v0, v5, offset:12              // permute edge values
s_waitcnt 0                                        // wait for swizzle operation
v_accvgpr_write_b32 acc178, v5                     // 
v_accvgpr_read_b32 v5, acc179                      // glvw 5 mb 5 tt1 19 r 0
s_nop 1                                            // v_accvgpr read vgpr after write vgpr: 2 wait states
ds_bpermute_b32 v5, v0, v5, offset:12              // permute edge values
s_waitcnt 0                                        // wait for swizzle operation
v_accvgpr_write_b32 acc179, v5                     // 
v_accvgpr_read_b32 v5, acc180                      // glvw 5 mb 5 tt1 20 r 0
s_nop 1                                            // v_accvgpr read vgpr after write vgpr: 2 wait states
ds_bpermute_b32 v5, v0, v5, offset:12              // permute edge values
s_waitcnt 0                                        // wait for swizzle operation
v_accvgpr_write_b32 acc180, v5                     // 
v_accvgpr_read_b32 v5, acc181                      // glvw 5 mb 5 tt1 21 r 0
s_nop 1                                            // v_accvgpr read vgpr after write vgpr: 2 wait states
ds_bpermute_b32 v5, v0, v5, offset:12              // permute edge values
s_waitcnt 0                                        // wait for swizzle operation
v_accvgpr_write_b32 acc181, v5                     // 
v_accvgpr_read_b32 v5, acc182                      // glvw 5 mb 5 tt1 22 r 0
s_nop 1                                            // v_accvgpr read vgpr after write vgpr: 2 wait states
ds_bpermute_b32 v5, v0, v5, offset:12              // permute edge values
s_waitcnt 0                                        // wait for swizzle operation
v_accvgpr_write_b32 acc182, v5                     // 
v_accvgpr_read_b32 v5, acc183                      // glvw 5 mb 5 tt1 23 r 0
s_nop 1                                            // v_accvgpr read vgpr after write vgpr: 2 wait states
ds_bpermute_b32 v5, v0, v5, offset:12              // permute edge values
s_waitcnt 0                                        // wait for swizzle operation
v_accvgpr_write_b32 acc183, v5                     // 
v_accvgpr_read_b32 v5, acc184                      // glvw 5 mb 5 tt1 24 r 0
s_nop 1                                            // v_accvgpr read vgpr after write vgpr: 2 wait states
ds_bpermute_b32 v5, v0, v5, offset:12              // permute edge values
s_waitcnt 0                                        // wait for swizzle operation
v_accvgpr_write_b32 acc184, v5                     // 
v_accvgpr_read_b32 v5, acc185                      // glvw 5 mb 5 tt1 25 r 0
s_nop 1                                            // v_accvgpr read vgpr after write vgpr: 2 wait states
ds_bpermute_b32 v5, v0, v5, offset:12              // permute edge values
s_waitcnt 0                                        // wait for swizzle operation
v_accvgpr_write_b32 acc185, v5                     // 
v_accvgpr_read_b32 v5, acc186                      // glvw 5 mb 5 tt1 26 r 0
s_nop 1                                            // v_accvgpr read vgpr after write vgpr: 2 wait states
ds_bpermute_b32 v5, v0, v5, offset:12              // permute edge values
s_waitcnt 0                                        // wait for swizzle operation
v_accvgpr_write_b32 acc186, v5                     // 
v_accvgpr_read_b32 v5, acc187                      // glvw 5 mb 5 tt1 27 r 0
s_nop 1                                            // v_accvgpr read vgpr after write vgpr: 2 wait states
ds_bpermute_b32 v5, v0, v5, offset:12              // permute edge values
s_waitcnt 0                                        // wait for swizzle operation
v_accvgpr_write_b32 acc187, v5                     // 
v_accvgpr_read_b32 v5, acc188                      // glvw 5 mb 5 tt1 28 r 0
s_nop 1                                            // v_accvgpr read vgpr after write vgpr: 2 wait states
ds_bpermute_b32 v5, v0, v5, offset:12              // permute edge values
s_waitcnt 0                                        // wait for swizzle operation
v_accvgpr_write_b32 acc188, v5                     // 
v_accvgpr_read_b32 v5, acc189                      // glvw 5 mb 5 tt1 29 r 0
s_nop 1                                            // v_accvgpr read vgpr after write vgpr: 2 wait states
ds_bpermute_b32 v5, v0, v5, offset:12              // permute edge values
s_waitcnt 0                                        // wait for swizzle operation
v_accvgpr_write_b32 acc189, v5                     // 
v_accvgpr_read_b32 v5, acc190                      // glvw 5 mb 5 tt1 30 r 0
s_nop 1                                            // v_accvgpr read vgpr after write vgpr: 2 wait states
ds_bpermute_b32 v5, v0, v5, offset:12              // permute edge values
s_waitcnt 0                                        // wait for swizzle operation
v_accvgpr_write_b32 acc190, v5                     // 
v_accvgpr_read_b32 v5, acc191                      // glvw 5 mb 5 tt1 31 r 0
s_nop 1                                            // v_accvgpr read vgpr after write vgpr: 2 wait states
ds_bpermute_b32 v5, v0, v5, offset:12              // permute edge values
s_waitcnt 0                                        // wait for swizzle operation
v_accvgpr_write_b32 acc191, v5                     // 
s_mov_b64 s[32:33], 0xFFFFFFFFFFFFFFFF             // to restore all threads active
s_or_saveexec_b64 vcc, s[32:33]                    // all threads active
s_branch label_0148                                // done shifting


/******************************************/
/* shift d1 r=5 mb=6 vw0                  */
/******************************************/
label_0111: // r5 mb6 vw0 
s_mov_b32 s32, 24                                  // 
_v_cmpx_eq_u32 s[32:33], v4, s32                   // is thread in edge glvw region
v_and_b32 v0, 63, v[vgprSerial]                    // permute register between threads
v_lshlrev_b32 v0, 2, v0                            // permute register between threads
v_accvgpr_read_b32 v5, acc192                      // glvw 5 mb 6 tt1 0 r 0
s_nop 1                                            // v_accvgpr read vgpr after write vgpr: 2 wait states
ds_bpermute_b32 v5, v0, v5, offset:12              // permute edge values
s_waitcnt 0                                        // wait for swizzle operation
v_accvgpr_write_b32 acc192, v5                     // 
v_accvgpr_read_b32 v5, acc193                      // glvw 5 mb 6 tt1 1 r 0
s_nop 1                                            // v_accvgpr read vgpr after write vgpr: 2 wait states
ds_bpermute_b32 v5, v0, v5, offset:12              // permute edge values
s_waitcnt 0                                        // wait for swizzle operation
v_accvgpr_write_b32 acc193, v5                     // 
v_accvgpr_read_b32 v5, acc194                      // glvw 5 mb 6 tt1 2 r 0
s_nop 1                                            // v_accvgpr read vgpr after write vgpr: 2 wait states
ds_bpermute_b32 v5, v0, v5, offset:12              // permute edge values
s_waitcnt 0                                        // wait for swizzle operation
v_accvgpr_write_b32 acc194, v5                     // 
v_accvgpr_read_b32 v5, acc195                      // glvw 5 mb 6 tt1 3 r 0
s_nop 1                                            // v_accvgpr read vgpr after write vgpr: 2 wait states
ds_bpermute_b32 v5, v0, v5, offset:12              // permute edge values
s_waitcnt 0                                        // wait for swizzle operation
v_accvgpr_write_b32 acc195, v5                     // 
v_accvgpr_read_b32 v5, acc196                      // glvw 5 mb 6 tt1 4 r 0
s_nop 1                                            // v_accvgpr read vgpr after write vgpr: 2 wait states
ds_bpermute_b32 v5, v0, v5, offset:12              // permute edge values
s_waitcnt 0                                        // wait for swizzle operation
v_accvgpr_write_b32 acc196, v5                     // 
v_accvgpr_read_b32 v5, acc197                      // glvw 5 mb 6 tt1 5 r 0
s_nop 1                                            // v_accvgpr read vgpr after write vgpr: 2 wait states
ds_bpermute_b32 v5, v0, v5, offset:12              // permute edge values
s_waitcnt 0                                        // wait for swizzle operation
v_accvgpr_write_b32 acc197, v5                     // 
v_accvgpr_read_b32 v5, acc198                      // glvw 5 mb 6 tt1 6 r 0
s_nop 1                                            // v_accvgpr read vgpr after write vgpr: 2 wait states
ds_bpermute_b32 v5, v0, v5, offset:12              // permute edge values
s_waitcnt 0                                        // wait for swizzle operation
v_accvgpr_write_b32 acc198, v5                     // 
v_accvgpr_read_b32 v5, acc199                      // glvw 5 mb 6 tt1 7 r 0
s_nop 1                                            // v_accvgpr read vgpr after write vgpr: 2 wait states
ds_bpermute_b32 v5, v0, v5, offset:12              // permute edge values
s_waitcnt 0                                        // wait for swizzle operation
v_accvgpr_write_b32 acc199, v5                     // 
v_accvgpr_read_b32 v5, acc200                      // glvw 5 mb 6 tt1 8 r 0
s_nop 1                                            // v_accvgpr read vgpr after write vgpr: 2 wait states
ds_bpermute_b32 v5, v0, v5, offset:12              // permute edge values
s_waitcnt 0                                        // wait for swizzle operation
v_accvgpr_write_b32 acc200, v5                     // 
v_accvgpr_read_b32 v5, acc201                      // glvw 5 mb 6 tt1 9 r 0
s_nop 1                                            // v_accvgpr read vgpr after write vgpr: 2 wait states
ds_bpermute_b32 v5, v0, v5, offset:12              // permute edge values
s_waitcnt 0                                        // wait for swizzle operation
v_accvgpr_write_b32 acc201, v5                     // 
v_accvgpr_read_b32 v5, acc202                      // glvw 5 mb 6 tt1 10 r 0
s_nop 1                                            // v_accvgpr read vgpr after write vgpr: 2 wait states
ds_bpermute_b32 v5, v0, v5, offset:12              // permute edge values
s_waitcnt 0                                        // wait for swizzle operation
v_accvgpr_write_b32 acc202, v5                     // 
v_accvgpr_read_b32 v5, acc203                      // glvw 5 mb 6 tt1 11 r 0
s_nop 1                                            // v_accvgpr read vgpr after write vgpr: 2 wait states
ds_bpermute_b32 v5, v0, v5, offset:12              // permute edge values
s_waitcnt 0                                        // wait for swizzle operation
v_accvgpr_write_b32 acc203, v5                     // 
v_accvgpr_read_b32 v5, acc204                      // glvw 5 mb 6 tt1 12 r 0
s_nop 1                                            // v_accvgpr read vgpr after write vgpr: 2 wait states
ds_bpermute_b32 v5, v0, v5, offset:12              // permute edge values
s_waitcnt 0                                        // wait for swizzle operation
v_accvgpr_write_b32 acc204, v5                     // 
v_accvgpr_read_b32 v5, acc205                      // glvw 5 mb 6 tt1 13 r 0
s_nop 1                                            // v_accvgpr read vgpr after write vgpr: 2 wait states
ds_bpermute_b32 v5, v0, v5, offset:12              // permute edge values
s_waitcnt 0                                        // wait for swizzle operation
v_accvgpr_write_b32 acc205, v5                     // 
v_accvgpr_read_b32 v5, acc206                      // glvw 5 mb 6 tt1 14 r 0
s_nop 1                                            // v_accvgpr read vgpr after write vgpr: 2 wait states
ds_bpermute_b32 v5, v0, v5, offset:12              // permute edge values
s_waitcnt 0                                        // wait for swizzle operation
v_accvgpr_write_b32 acc206, v5                     // 
v_accvgpr_read_b32 v5, acc207                      // glvw 5 mb 6 tt1 15 r 0
s_nop 1                                            // v_accvgpr read vgpr after write vgpr: 2 wait states
ds_bpermute_b32 v5, v0, v5, offset:12              // permute edge values
s_waitcnt 0                                        // wait for swizzle operation
v_accvgpr_write_b32 acc207, v5                     // 
v_accvgpr_read_b32 v5, acc208                      // glvw 5 mb 6 tt1 16 r 0
s_nop 1                                            // v_accvgpr read vgpr after write vgpr: 2 wait states
ds_bpermute_b32 v5, v0, v5, offset:12              // permute edge values
s_waitcnt 0                                        // wait for swizzle operation
v_accvgpr_write_b32 acc208, v5                     // 
v_accvgpr_read_b32 v5, acc209                      // glvw 5 mb 6 tt1 17 r 0
s_nop 1                                            // v_accvgpr read vgpr after write vgpr: 2 wait states
ds_bpermute_b32 v5, v0, v5, offset:12              // permute edge values
s_waitcnt 0                                        // wait for swizzle operation
v_accvgpr_write_b32 acc209, v5                     // 
v_accvgpr_read_b32 v5, acc210                      // glvw 5 mb 6 tt1 18 r 0
s_nop 1                                            // v_accvgpr read vgpr after write vgpr: 2 wait states
ds_bpermute_b32 v5, v0, v5, offset:12              // permute edge values
s_waitcnt 0                                        // wait for swizzle operation
v_accvgpr_write_b32 acc210, v5                     // 
v_accvgpr_read_b32 v5, acc211                      // glvw 5 mb 6 tt1 19 r 0
s_nop 1                                            // v_accvgpr read vgpr after write vgpr: 2 wait states
ds_bpermute_b32 v5, v0, v5, offset:12              // permute edge values
s_waitcnt 0                                        // wait for swizzle operation
v_accvgpr_write_b32 acc211, v5                     // 
v_accvgpr_read_b32 v5, acc212                      // glvw 5 mb 6 tt1 20 r 0
s_nop 1                                            // v_accvgpr read vgpr after write vgpr: 2 wait states
ds_bpermute_b32 v5, v0, v5, offset:12              // permute edge values
s_waitcnt 0                                        // wait for swizzle operation
v_accvgpr_write_b32 acc212, v5                     // 
v_accvgpr_read_b32 v5, acc213                      // glvw 5 mb 6 tt1 21 r 0
s_nop 1                                            // v_accvgpr read vgpr after write vgpr: 2 wait states
ds_bpermute_b32 v5, v0, v5, offset:12              // permute edge values
s_waitcnt 0                                        // wait for swizzle operation
v_accvgpr_write_b32 acc213, v5                     // 
v_accvgpr_read_b32 v5, acc214                      // glvw 5 mb 6 tt1 22 r 0
s_nop 1                                            // v_accvgpr read vgpr after write vgpr: 2 wait states
ds_bpermute_b32 v5, v0, v5, offset:12              // permute edge values
s_waitcnt 0                                        // wait for swizzle operation
v_accvgpr_write_b32 acc214, v5                     // 
v_accvgpr_read_b32 v5, acc215                      // glvw 5 mb 6 tt1 23 r 0
s_nop 1                                            // v_accvgpr read vgpr after write vgpr: 2 wait states
ds_bpermute_b32 v5, v0, v5, offset:12              // permute edge values
s_waitcnt 0                                        // wait for swizzle operation
v_accvgpr_write_b32 acc215, v5                     // 
v_accvgpr_read_b32 v5, acc216                      // glvw 5 mb 6 tt1 24 r 0
s_nop 1                                            // v_accvgpr read vgpr after write vgpr: 2 wait states
ds_bpermute_b32 v5, v0, v5, offset:12              // permute edge values
s_waitcnt 0                                        // wait for swizzle operation
v_accvgpr_write_b32 acc216, v5                     // 
v_accvgpr_read_b32 v5, acc217                      // glvw 5 mb 6 tt1 25 r 0
s_nop 1                                            // v_accvgpr read vgpr after write vgpr: 2 wait states
ds_bpermute_b32 v5, v0, v5, offset:12              // permute edge values
s_waitcnt 0                                        // wait for swizzle operation
v_accvgpr_write_b32 acc217, v5                     // 
v_accvgpr_read_b32 v5, acc218                      // glvw 5 mb 6 tt1 26 r 0
s_nop 1                                            // v_accvgpr read vgpr after write vgpr: 2 wait states
ds_bpermute_b32 v5, v0, v5, offset:12              // permute edge values
s_waitcnt 0                                        // wait for swizzle operation
v_accvgpr_write_b32 acc218, v5                     // 
v_accvgpr_read_b32 v5, acc219                      // glvw 5 mb 6 tt1 27 r 0
s_nop 1                                            // v_accvgpr read vgpr after write vgpr: 2 wait states
ds_bpermute_b32 v5, v0, v5, offset:12              // permute edge values
s_waitcnt 0                                        // wait for swizzle operation
v_accvgpr_write_b32 acc219, v5                     // 
v_accvgpr_read_b32 v5, acc220                      // glvw 5 mb 6 tt1 28 r 0
s_nop 1                                            // v_accvgpr read vgpr after write vgpr: 2 wait states
ds_bpermute_b32 v5, v0, v5, offset:12              // permute edge values
s_waitcnt 0                                        // wait for swizzle operation
v_accvgpr_write_b32 acc220, v5                     // 
v_accvgpr_read_b32 v5, acc221                      // glvw 5 mb 6 tt1 29 r 0
s_nop 1                                            // v_accvgpr read vgpr after write vgpr: 2 wait states
ds_bpermute_b32 v5, v0, v5, offset:12              // permute edge values
s_waitcnt 0                                        // wait for swizzle operation
v_accvgpr_write_b32 acc221, v5                     // 
v_accvgpr_read_b32 v5, acc222                      // glvw 5 mb 6 tt1 30 r 0
s_nop 1                                            // v_accvgpr read vgpr after write vgpr: 2 wait states
ds_bpermute_b32 v5, v0, v5, offset:12              // permute edge values
s_waitcnt 0                                        // wait for swizzle operation
v_accvgpr_write_b32 acc222, v5                     // 
v_accvgpr_read_b32 v5, acc223                      // glvw 5 mb 6 tt1 31 r 0
s_nop 1                                            // v_accvgpr read vgpr after write vgpr: 2 wait states
ds_bpermute_b32 v5, v0, v5, offset:12              // permute edge values
s_waitcnt 0                                        // wait for swizzle operation
v_accvgpr_write_b32 acc223, v5                     // 
s_mov_b64 s[32:33], 0xFFFFFFFFFFFFFFFF             // to restore all threads active
s_or_saveexec_b64 vcc, s[32:33]                    // all threads active
s_branch label_0148                                // done shifting


/******************************************/
/* shift d1 r=5 mb=7 vw0                  */
/******************************************/
label_0113: // r5 mb7 vw0 
s_mov_b32 s32, 28                                  // 
_v_cmpx_eq_u32 s[32:33], v4, s32                   // is thread in edge glvw region
v_and_b32 v0, 63, v[vgprSerial]                    // permute register between threads
v_lshlrev_b32 v0, 2, v0                            // permute register between threads
v_accvgpr_read_b32 v5, acc224                      // glvw 5 mb 7 tt1 0 r 0
s_nop 1                                            // v_accvgpr read vgpr after write vgpr: 2 wait states
ds_bpermute_b32 v5, v0, v5, offset:12              // permute edge values
s_waitcnt 0                                        // wait for swizzle operation
v_accvgpr_write_b32 acc224, v5                     // 
v_accvgpr_read_b32 v5, acc225                      // glvw 5 mb 7 tt1 1 r 0
s_nop 1                                            // v_accvgpr read vgpr after write vgpr: 2 wait states
ds_bpermute_b32 v5, v0, v5, offset:12              // permute edge values
s_waitcnt 0                                        // wait for swizzle operation
v_accvgpr_write_b32 acc225, v5                     // 
v_accvgpr_read_b32 v5, acc226                      // glvw 5 mb 7 tt1 2 r 0
s_nop 1                                            // v_accvgpr read vgpr after write vgpr: 2 wait states
ds_bpermute_b32 v5, v0, v5, offset:12              // permute edge values
s_waitcnt 0                                        // wait for swizzle operation
v_accvgpr_write_b32 acc226, v5                     // 
v_accvgpr_read_b32 v5, acc227                      // glvw 5 mb 7 tt1 3 r 0
s_nop 1                                            // v_accvgpr read vgpr after write vgpr: 2 wait states
ds_bpermute_b32 v5, v0, v5, offset:12              // permute edge values
s_waitcnt 0                                        // wait for swizzle operation
v_accvgpr_write_b32 acc227, v5                     // 
v_accvgpr_read_b32 v5, acc228                      // glvw 5 mb 7 tt1 4 r 0
s_nop 1                                            // v_accvgpr read vgpr after write vgpr: 2 wait states
ds_bpermute_b32 v5, v0, v5, offset:12              // permute edge values
s_waitcnt 0                                        // wait for swizzle operation
v_accvgpr_write_b32 acc228, v5                     // 
v_accvgpr_read_b32 v5, acc229                      // glvw 5 mb 7 tt1 5 r 0
s_nop 1                                            // v_accvgpr read vgpr after write vgpr: 2 wait states
ds_bpermute_b32 v5, v0, v5, offset:12              // permute edge values
s_waitcnt 0                                        // wait for swizzle operation
v_accvgpr_write_b32 acc229, v5                     // 
v_accvgpr_read_b32 v5, acc230                      // glvw 5 mb 7 tt1 6 r 0
s_nop 1                                            // v_accvgpr read vgpr after write vgpr: 2 wait states
ds_bpermute_b32 v5, v0, v5, offset:12              // permute edge values
s_waitcnt 0                                        // wait for swizzle operation
v_accvgpr_write_b32 acc230, v5                     // 
v_accvgpr_read_b32 v5, acc231                      // glvw 5 mb 7 tt1 7 r 0
s_nop 1                                            // v_accvgpr read vgpr after write vgpr: 2 wait states
ds_bpermute_b32 v5, v0, v5, offset:12              // permute edge values
s_waitcnt 0                                        // wait for swizzle operation
v_accvgpr_write_b32 acc231, v5                     // 
v_accvgpr_read_b32 v5, acc232                      // glvw 5 mb 7 tt1 8 r 0
s_nop 1                                            // v_accvgpr read vgpr after write vgpr: 2 wait states
ds_bpermute_b32 v5, v0, v5, offset:12              // permute edge values
s_waitcnt 0                                        // wait for swizzle operation
v_accvgpr_write_b32 acc232, v5                     // 
v_accvgpr_read_b32 v5, acc233                      // glvw 5 mb 7 tt1 9 r 0
s_nop 1                                            // v_accvgpr read vgpr after write vgpr: 2 wait states
ds_bpermute_b32 v5, v0, v5, offset:12              // permute edge values
s_waitcnt 0                                        // wait for swizzle operation
v_accvgpr_write_b32 acc233, v5                     // 
v_accvgpr_read_b32 v5, acc234                      // glvw 5 mb 7 tt1 10 r 0
s_nop 1                                            // v_accvgpr read vgpr after write vgpr: 2 wait states
ds_bpermute_b32 v5, v0, v5, offset:12              // permute edge values
s_waitcnt 0                                        // wait for swizzle operation
v_accvgpr_write_b32 acc234, v5                     // 
v_accvgpr_read_b32 v5, acc235                      // glvw 5 mb 7 tt1 11 r 0
s_nop 1                                            // v_accvgpr read vgpr after write vgpr: 2 wait states
ds_bpermute_b32 v5, v0, v5, offset:12              // permute edge values
s_waitcnt 0                                        // wait for swizzle operation
v_accvgpr_write_b32 acc235, v5                     // 
v_accvgpr_read_b32 v5, acc236                      // glvw 5 mb 7 tt1 12 r 0
s_nop 1                                            // v_accvgpr read vgpr after write vgpr: 2 wait states
ds_bpermute_b32 v5, v0, v5, offset:12              // permute edge values
s_waitcnt 0                                        // wait for swizzle operation
v_accvgpr_write_b32 acc236, v5                     // 
v_accvgpr_read_b32 v5, acc237                      // glvw 5 mb 7 tt1 13 r 0
s_nop 1                                            // v_accvgpr read vgpr after write vgpr: 2 wait states
ds_bpermute_b32 v5, v0, v5, offset:12              // permute edge values
s_waitcnt 0                                        // wait for swizzle operation
v_accvgpr_write_b32 acc237, v5                     // 
v_accvgpr_read_b32 v5, acc238                      // glvw 5 mb 7 tt1 14 r 0
s_nop 1                                            // v_accvgpr read vgpr after write vgpr: 2 wait states
ds_bpermute_b32 v5, v0, v5, offset:12              // permute edge values
s_waitcnt 0                                        // wait for swizzle operation
v_accvgpr_write_b32 acc238, v5                     // 
v_accvgpr_read_b32 v5, acc239                      // glvw 5 mb 7 tt1 15 r 0
s_nop 1                                            // v_accvgpr read vgpr after write vgpr: 2 wait states
ds_bpermute_b32 v5, v0, v5, offset:12              // permute edge values
s_waitcnt 0                                        // wait for swizzle operation
v_accvgpr_write_b32 acc239, v5                     // 
v_accvgpr_read_b32 v5, acc240                      // glvw 5 mb 7 tt1 16 r 0
s_nop 1                                            // v_accvgpr read vgpr after write vgpr: 2 wait states
ds_bpermute_b32 v5, v0, v5, offset:12              // permute edge values
s_waitcnt 0                                        // wait for swizzle operation
v_accvgpr_write_b32 acc240, v5                     // 
v_accvgpr_read_b32 v5, acc241                      // glvw 5 mb 7 tt1 17 r 0
s_nop 1                                            // v_accvgpr read vgpr after write vgpr: 2 wait states
ds_bpermute_b32 v5, v0, v5, offset:12              // permute edge values
s_waitcnt 0                                        // wait for swizzle operation
v_accvgpr_write_b32 acc241, v5                     // 
v_accvgpr_read_b32 v5, acc242                      // glvw 5 mb 7 tt1 18 r 0
s_nop 1                                            // v_accvgpr read vgpr after write vgpr: 2 wait states
ds_bpermute_b32 v5, v0, v5, offset:12              // permute edge values
s_waitcnt 0                                        // wait for swizzle operation
v_accvgpr_write_b32 acc242, v5                     // 
v_accvgpr_read_b32 v5, acc243                      // glvw 5 mb 7 tt1 19 r 0
s_nop 1                                            // v_accvgpr read vgpr after write vgpr: 2 wait states
ds_bpermute_b32 v5, v0, v5, offset:12              // permute edge values
s_waitcnt 0                                        // wait for swizzle operation
v_accvgpr_write_b32 acc243, v5                     // 
v_accvgpr_read_b32 v5, acc244                      // glvw 5 mb 7 tt1 20 r 0
s_nop 1                                            // v_accvgpr read vgpr after write vgpr: 2 wait states
ds_bpermute_b32 v5, v0, v5, offset:12              // permute edge values
s_waitcnt 0                                        // wait for swizzle operation
v_accvgpr_write_b32 acc244, v5                     // 
v_accvgpr_read_b32 v5, acc245                      // glvw 5 mb 7 tt1 21 r 0
s_nop 1                                            // v_accvgpr read vgpr after write vgpr: 2 wait states
ds_bpermute_b32 v5, v0, v5, offset:12              // permute edge values
s_waitcnt 0                                        // wait for swizzle operation
v_accvgpr_write_b32 acc245, v5                     // 
v_accvgpr_read_b32 v5, acc246                      // glvw 5 mb 7 tt1 22 r 0
s_nop 1                                            // v_accvgpr read vgpr after write vgpr: 2 wait states
ds_bpermute_b32 v5, v0, v5, offset:12              // permute edge values
s_waitcnt 0                                        // wait for swizzle operation
v_accvgpr_write_b32 acc246, v5                     // 
v_accvgpr_read_b32 v5, acc247                      // glvw 5 mb 7 tt1 23 r 0
s_nop 1                                            // v_accvgpr read vgpr after write vgpr: 2 wait states
ds_bpermute_b32 v5, v0, v5, offset:12              // permute edge values
s_waitcnt 0                                        // wait for swizzle operation
v_accvgpr_write_b32 acc247, v5                     // 
v_accvgpr_read_b32 v5, acc248                      // glvw 5 mb 7 tt1 24 r 0
s_nop 1                                            // v_accvgpr read vgpr after write vgpr: 2 wait states
ds_bpermute_b32 v5, v0, v5, offset:12              // permute edge values
s_waitcnt 0                                        // wait for swizzle operation
v_accvgpr_write_b32 acc248, v5                     // 
v_accvgpr_read_b32 v5, acc249                      // glvw 5 mb 7 tt1 25 r 0
s_nop 1                                            // v_accvgpr read vgpr after write vgpr: 2 wait states
ds_bpermute_b32 v5, v0, v5, offset:12              // permute edge values
s_waitcnt 0                                        // wait for swizzle operation
v_accvgpr_write_b32 acc249, v5                     // 
v_accvgpr_read_b32 v5, acc250                      // glvw 5 mb 7 tt1 26 r 0
s_nop 1                                            // v_accvgpr read vgpr after write vgpr: 2 wait states
ds_bpermute_b32 v5, v0, v5, offset:12              // permute edge values
s_waitcnt 0                                        // wait for swizzle operation
v_accvgpr_write_b32 acc250, v5                     // 
v_accvgpr_read_b32 v5, acc251                      // glvw 5 mb 7 tt1 27 r 0
s_nop 1                                            // v_accvgpr read vgpr after write vgpr: 2 wait states
ds_bpermute_b32 v5, v0, v5, offset:12              // permute edge values
s_waitcnt 0                                        // wait for swizzle operation
v_accvgpr_write_b32 acc251, v5                     // 
v_accvgpr_read_b32 v5, acc252                      // glvw 5 mb 7 tt1 28 r 0
s_nop 1                                            // v_accvgpr read vgpr after write vgpr: 2 wait states
ds_bpermute_b32 v5, v0, v5, offset:12              // permute edge values
s_waitcnt 0                                        // wait for swizzle operation
v_accvgpr_write_b32 acc252, v5                     // 
v_accvgpr_read_b32 v5, acc253                      // glvw 5 mb 7 tt1 29 r 0
s_nop 1                                            // v_accvgpr read vgpr after write vgpr: 2 wait states
ds_bpermute_b32 v5, v0, v5, offset:12              // permute edge values
s_waitcnt 0                                        // wait for swizzle operation
v_accvgpr_write_b32 acc253, v5                     // 
v_accvgpr_read_b32 v5, acc254                      // glvw 5 mb 7 tt1 30 r 0
s_nop 1                                            // v_accvgpr read vgpr after write vgpr: 2 wait states
ds_bpermute_b32 v5, v0, v5, offset:12              // permute edge values
s_waitcnt 0                                        // wait for swizzle operation
v_accvgpr_write_b32 acc254, v5                     // 
v_accvgpr_read_b32 v5, acc255                      // glvw 5 mb 7 tt1 31 r 0
s_nop 1                                            // v_accvgpr read vgpr after write vgpr: 2 wait states
ds_bpermute_b32 v5, v0, v5, offset:12              // permute edge values
s_waitcnt 0                                        // wait for swizzle operation
v_accvgpr_write_b32 acc255, v5                     // 
s_mov_b64 s[32:33], 0xFFFFFFFFFFFFFFFF             // to restore all threads active
s_or_saveexec_b64 vcc, s[32:33]                    // all threads active
s_branch label_0148                                // done shifting


/******************************************/
/* shift d1 r=6 mb=0 vw0                  */
/******************************************/
label_0116: // r6 mb0 vw0 
s_mov_b32 s32, 0                                   // 
_v_cmpx_eq_u32 s[32:33], v4, s32                   // is thread in edge glvw region
v_and_b32 v0, 63, v[vgprSerial]                    // permute register between threads
v_lshlrev_b32 v0, 2, v0                            // permute register between threads
v_accvgpr_read_b32 v5, acc0                        // glvw 6 mb 0 tt1 0 r 0
s_nop 1                                            // v_accvgpr read vgpr after write vgpr: 2 wait states
ds_bpermute_b32 v5, v0, v5, offset:8               // permute edge values
s_waitcnt 0                                        // wait for swizzle operation
v_accvgpr_write_b32 acc0, v5                       // 
v_accvgpr_read_b32 v5, acc1                        // glvw 6 mb 0 tt1 1 r 0
s_nop 1                                            // v_accvgpr read vgpr after write vgpr: 2 wait states
ds_bpermute_b32 v5, v0, v5, offset:8               // permute edge values
s_waitcnt 0                                        // wait for swizzle operation
v_accvgpr_write_b32 acc1, v5                       // 
v_accvgpr_read_b32 v5, acc2                        // glvw 6 mb 0 tt1 2 r 0
s_nop 1                                            // v_accvgpr read vgpr after write vgpr: 2 wait states
ds_bpermute_b32 v5, v0, v5, offset:8               // permute edge values
s_waitcnt 0                                        // wait for swizzle operation
v_accvgpr_write_b32 acc2, v5                       // 
v_accvgpr_read_b32 v5, acc3                        // glvw 6 mb 0 tt1 3 r 0
s_nop 1                                            // v_accvgpr read vgpr after write vgpr: 2 wait states
ds_bpermute_b32 v5, v0, v5, offset:8               // permute edge values
s_waitcnt 0                                        // wait for swizzle operation
v_accvgpr_write_b32 acc3, v5                       // 
v_accvgpr_read_b32 v5, acc4                        // glvw 6 mb 0 tt1 4 r 0
s_nop 1                                            // v_accvgpr read vgpr after write vgpr: 2 wait states
ds_bpermute_b32 v5, v0, v5, offset:8               // permute edge values
s_waitcnt 0                                        // wait for swizzle operation
v_accvgpr_write_b32 acc4, v5                       // 
v_accvgpr_read_b32 v5, acc5                        // glvw 6 mb 0 tt1 5 r 0
s_nop 1                                            // v_accvgpr read vgpr after write vgpr: 2 wait states
ds_bpermute_b32 v5, v0, v5, offset:8               // permute edge values
s_waitcnt 0                                        // wait for swizzle operation
v_accvgpr_write_b32 acc5, v5                       // 
v_accvgpr_read_b32 v5, acc6                        // glvw 6 mb 0 tt1 6 r 0
s_nop 1                                            // v_accvgpr read vgpr after write vgpr: 2 wait states
ds_bpermute_b32 v5, v0, v5, offset:8               // permute edge values
s_waitcnt 0                                        // wait for swizzle operation
v_accvgpr_write_b32 acc6, v5                       // 
v_accvgpr_read_b32 v5, acc7                        // glvw 6 mb 0 tt1 7 r 0
s_nop 1                                            // v_accvgpr read vgpr after write vgpr: 2 wait states
ds_bpermute_b32 v5, v0, v5, offset:8               // permute edge values
s_waitcnt 0                                        // wait for swizzle operation
v_accvgpr_write_b32 acc7, v5                       // 
v_accvgpr_read_b32 v5, acc8                        // glvw 6 mb 0 tt1 8 r 0
s_nop 1                                            // v_accvgpr read vgpr after write vgpr: 2 wait states
ds_bpermute_b32 v5, v0, v5, offset:8               // permute edge values
s_waitcnt 0                                        // wait for swizzle operation
v_accvgpr_write_b32 acc8, v5                       // 
v_accvgpr_read_b32 v5, acc9                        // glvw 6 mb 0 tt1 9 r 0
s_nop 1                                            // v_accvgpr read vgpr after write vgpr: 2 wait states
ds_bpermute_b32 v5, v0, v5, offset:8               // permute edge values
s_waitcnt 0                                        // wait for swizzle operation
v_accvgpr_write_b32 acc9, v5                       // 
v_accvgpr_read_b32 v5, acc10                       // glvw 6 mb 0 tt1 10 r 0
s_nop 1                                            // v_accvgpr read vgpr after write vgpr: 2 wait states
ds_bpermute_b32 v5, v0, v5, offset:8               // permute edge values
s_waitcnt 0                                        // wait for swizzle operation
v_accvgpr_write_b32 acc10, v5                      // 
v_accvgpr_read_b32 v5, acc11                       // glvw 6 mb 0 tt1 11 r 0
s_nop 1                                            // v_accvgpr read vgpr after write vgpr: 2 wait states
ds_bpermute_b32 v5, v0, v5, offset:8               // permute edge values
s_waitcnt 0                                        // wait for swizzle operation
v_accvgpr_write_b32 acc11, v5                      // 
v_accvgpr_read_b32 v5, acc12                       // glvw 6 mb 0 tt1 12 r 0
s_nop 1                                            // v_accvgpr read vgpr after write vgpr: 2 wait states
ds_bpermute_b32 v5, v0, v5, offset:8               // permute edge values
s_waitcnt 0                                        // wait for swizzle operation
v_accvgpr_write_b32 acc12, v5                      // 
v_accvgpr_read_b32 v5, acc13                       // glvw 6 mb 0 tt1 13 r 0
s_nop 1                                            // v_accvgpr read vgpr after write vgpr: 2 wait states
ds_bpermute_b32 v5, v0, v5, offset:8               // permute edge values
s_waitcnt 0                                        // wait for swizzle operation
v_accvgpr_write_b32 acc13, v5                      // 
v_accvgpr_read_b32 v5, acc14                       // glvw 6 mb 0 tt1 14 r 0
s_nop 1                                            // v_accvgpr read vgpr after write vgpr: 2 wait states
ds_bpermute_b32 v5, v0, v5, offset:8               // permute edge values
s_waitcnt 0                                        // wait for swizzle operation
v_accvgpr_write_b32 acc14, v5                      // 
v_accvgpr_read_b32 v5, acc15                       // glvw 6 mb 0 tt1 15 r 0
s_nop 1                                            // v_accvgpr read vgpr after write vgpr: 2 wait states
ds_bpermute_b32 v5, v0, v5, offset:8               // permute edge values
s_waitcnt 0                                        // wait for swizzle operation
v_accvgpr_write_b32 acc15, v5                      // 
v_accvgpr_read_b32 v5, acc16                       // glvw 6 mb 0 tt1 16 r 0
s_nop 1                                            // v_accvgpr read vgpr after write vgpr: 2 wait states
ds_bpermute_b32 v5, v0, v5, offset:8               // permute edge values
s_waitcnt 0                                        // wait for swizzle operation
v_accvgpr_write_b32 acc16, v5                      // 
v_accvgpr_read_b32 v5, acc17                       // glvw 6 mb 0 tt1 17 r 0
s_nop 1                                            // v_accvgpr read vgpr after write vgpr: 2 wait states
ds_bpermute_b32 v5, v0, v5, offset:8               // permute edge values
s_waitcnt 0                                        // wait for swizzle operation
v_accvgpr_write_b32 acc17, v5                      // 
v_accvgpr_read_b32 v5, acc18                       // glvw 6 mb 0 tt1 18 r 0
s_nop 1                                            // v_accvgpr read vgpr after write vgpr: 2 wait states
ds_bpermute_b32 v5, v0, v5, offset:8               // permute edge values
s_waitcnt 0                                        // wait for swizzle operation
v_accvgpr_write_b32 acc18, v5                      // 
v_accvgpr_read_b32 v5, acc19                       // glvw 6 mb 0 tt1 19 r 0
s_nop 1                                            // v_accvgpr read vgpr after write vgpr: 2 wait states
ds_bpermute_b32 v5, v0, v5, offset:8               // permute edge values
s_waitcnt 0                                        // wait for swizzle operation
v_accvgpr_write_b32 acc19, v5                      // 
v_accvgpr_read_b32 v5, acc20                       // glvw 6 mb 0 tt1 20 r 0
s_nop 1                                            // v_accvgpr read vgpr after write vgpr: 2 wait states
ds_bpermute_b32 v5, v0, v5, offset:8               // permute edge values
s_waitcnt 0                                        // wait for swizzle operation
v_accvgpr_write_b32 acc20, v5                      // 
v_accvgpr_read_b32 v5, acc21                       // glvw 6 mb 0 tt1 21 r 0
s_nop 1                                            // v_accvgpr read vgpr after write vgpr: 2 wait states
ds_bpermute_b32 v5, v0, v5, offset:8               // permute edge values
s_waitcnt 0                                        // wait for swizzle operation
v_accvgpr_write_b32 acc21, v5                      // 
v_accvgpr_read_b32 v5, acc22                       // glvw 6 mb 0 tt1 22 r 0
s_nop 1                                            // v_accvgpr read vgpr after write vgpr: 2 wait states
ds_bpermute_b32 v5, v0, v5, offset:8               // permute edge values
s_waitcnt 0                                        // wait for swizzle operation
v_accvgpr_write_b32 acc22, v5                      // 
v_accvgpr_read_b32 v5, acc23                       // glvw 6 mb 0 tt1 23 r 0
s_nop 1                                            // v_accvgpr read vgpr after write vgpr: 2 wait states
ds_bpermute_b32 v5, v0, v5, offset:8               // permute edge values
s_waitcnt 0                                        // wait for swizzle operation
v_accvgpr_write_b32 acc23, v5                      // 
v_accvgpr_read_b32 v5, acc24                       // glvw 6 mb 0 tt1 24 r 0
s_nop 1                                            // v_accvgpr read vgpr after write vgpr: 2 wait states
ds_bpermute_b32 v5, v0, v5, offset:8               // permute edge values
s_waitcnt 0                                        // wait for swizzle operation
v_accvgpr_write_b32 acc24, v5                      // 
v_accvgpr_read_b32 v5, acc25                       // glvw 6 mb 0 tt1 25 r 0
s_nop 1                                            // v_accvgpr read vgpr after write vgpr: 2 wait states
ds_bpermute_b32 v5, v0, v5, offset:8               // permute edge values
s_waitcnt 0                                        // wait for swizzle operation
v_accvgpr_write_b32 acc25, v5                      // 
v_accvgpr_read_b32 v5, acc26                       // glvw 6 mb 0 tt1 26 r 0
s_nop 1                                            // v_accvgpr read vgpr after write vgpr: 2 wait states
ds_bpermute_b32 v5, v0, v5, offset:8               // permute edge values
s_waitcnt 0                                        // wait for swizzle operation
v_accvgpr_write_b32 acc26, v5                      // 
v_accvgpr_read_b32 v5, acc27                       // glvw 6 mb 0 tt1 27 r 0
s_nop 1                                            // v_accvgpr read vgpr after write vgpr: 2 wait states
ds_bpermute_b32 v5, v0, v5, offset:8               // permute edge values
s_waitcnt 0                                        // wait for swizzle operation
v_accvgpr_write_b32 acc27, v5                      // 
v_accvgpr_read_b32 v5, acc28                       // glvw 6 mb 0 tt1 28 r 0
s_nop 1                                            // v_accvgpr read vgpr after write vgpr: 2 wait states
ds_bpermute_b32 v5, v0, v5, offset:8               // permute edge values
s_waitcnt 0                                        // wait for swizzle operation
v_accvgpr_write_b32 acc28, v5                      // 
v_accvgpr_read_b32 v5, acc29                       // glvw 6 mb 0 tt1 29 r 0
s_nop 1                                            // v_accvgpr read vgpr after write vgpr: 2 wait states
ds_bpermute_b32 v5, v0, v5, offset:8               // permute edge values
s_waitcnt 0                                        // wait for swizzle operation
v_accvgpr_write_b32 acc29, v5                      // 
v_accvgpr_read_b32 v5, acc30                       // glvw 6 mb 0 tt1 30 r 0
s_nop 1                                            // v_accvgpr read vgpr after write vgpr: 2 wait states
ds_bpermute_b32 v5, v0, v5, offset:8               // permute edge values
s_waitcnt 0                                        // wait for swizzle operation
v_accvgpr_write_b32 acc30, v5                      // 
v_accvgpr_read_b32 v5, acc31                       // glvw 6 mb 0 tt1 31 r 0
s_nop 1                                            // v_accvgpr read vgpr after write vgpr: 2 wait states
ds_bpermute_b32 v5, v0, v5, offset:8               // permute edge values
s_waitcnt 0                                        // wait for swizzle operation
v_accvgpr_write_b32 acc31, v5                      // 
s_mov_b64 s[32:33], 0xFFFFFFFFFFFFFFFF             // to restore all threads active
s_or_saveexec_b64 vcc, s[32:33]                    // all threads active
s_branch label_0148                                // done shifting


/******************************************/
/* shift d1 r=6 mb=1 vw0                  */
/******************************************/
label_0118: // r6 mb1 vw0 
s_mov_b32 s32, 4                                   // 
_v_cmpx_eq_u32 s[32:33], v4, s32                   // is thread in edge glvw region
v_and_b32 v0, 63, v[vgprSerial]                    // permute register between threads
v_lshlrev_b32 v0, 2, v0                            // permute register between threads
v_accvgpr_read_b32 v5, acc32                       // glvw 6 mb 1 tt1 0 r 0
s_nop 1                                            // v_accvgpr read vgpr after write vgpr: 2 wait states
ds_bpermute_b32 v5, v0, v5, offset:8               // permute edge values
s_waitcnt 0                                        // wait for swizzle operation
v_accvgpr_write_b32 acc32, v5                      // 
v_accvgpr_read_b32 v5, acc33                       // glvw 6 mb 1 tt1 1 r 0
s_nop 1                                            // v_accvgpr read vgpr after write vgpr: 2 wait states
ds_bpermute_b32 v5, v0, v5, offset:8               // permute edge values
s_waitcnt 0                                        // wait for swizzle operation
v_accvgpr_write_b32 acc33, v5                      // 
v_accvgpr_read_b32 v5, acc34                       // glvw 6 mb 1 tt1 2 r 0
s_nop 1                                            // v_accvgpr read vgpr after write vgpr: 2 wait states
ds_bpermute_b32 v5, v0, v5, offset:8               // permute edge values
s_waitcnt 0                                        // wait for swizzle operation
v_accvgpr_write_b32 acc34, v5                      // 
v_accvgpr_read_b32 v5, acc35                       // glvw 6 mb 1 tt1 3 r 0
s_nop 1                                            // v_accvgpr read vgpr after write vgpr: 2 wait states
ds_bpermute_b32 v5, v0, v5, offset:8               // permute edge values
s_waitcnt 0                                        // wait for swizzle operation
v_accvgpr_write_b32 acc35, v5                      // 
v_accvgpr_read_b32 v5, acc36                       // glvw 6 mb 1 tt1 4 r 0
s_nop 1                                            // v_accvgpr read vgpr after write vgpr: 2 wait states
ds_bpermute_b32 v5, v0, v5, offset:8               // permute edge values
s_waitcnt 0                                        // wait for swizzle operation
v_accvgpr_write_b32 acc36, v5                      // 
v_accvgpr_read_b32 v5, acc37                       // glvw 6 mb 1 tt1 5 r 0
s_nop 1                                            // v_accvgpr read vgpr after write vgpr: 2 wait states
ds_bpermute_b32 v5, v0, v5, offset:8               // permute edge values
s_waitcnt 0                                        // wait for swizzle operation
v_accvgpr_write_b32 acc37, v5                      // 
v_accvgpr_read_b32 v5, acc38                       // glvw 6 mb 1 tt1 6 r 0
s_nop 1                                            // v_accvgpr read vgpr after write vgpr: 2 wait states
ds_bpermute_b32 v5, v0, v5, offset:8               // permute edge values
s_waitcnt 0                                        // wait for swizzle operation
v_accvgpr_write_b32 acc38, v5                      // 
v_accvgpr_read_b32 v5, acc39                       // glvw 6 mb 1 tt1 7 r 0
s_nop 1                                            // v_accvgpr read vgpr after write vgpr: 2 wait states
ds_bpermute_b32 v5, v0, v5, offset:8               // permute edge values
s_waitcnt 0                                        // wait for swizzle operation
v_accvgpr_write_b32 acc39, v5                      // 
v_accvgpr_read_b32 v5, acc40                       // glvw 6 mb 1 tt1 8 r 0
s_nop 1                                            // v_accvgpr read vgpr after write vgpr: 2 wait states
ds_bpermute_b32 v5, v0, v5, offset:8               // permute edge values
s_waitcnt 0                                        // wait for swizzle operation
v_accvgpr_write_b32 acc40, v5                      // 
v_accvgpr_read_b32 v5, acc41                       // glvw 6 mb 1 tt1 9 r 0
s_nop 1                                            // v_accvgpr read vgpr after write vgpr: 2 wait states
ds_bpermute_b32 v5, v0, v5, offset:8               // permute edge values
s_waitcnt 0                                        // wait for swizzle operation
v_accvgpr_write_b32 acc41, v5                      // 
v_accvgpr_read_b32 v5, acc42                       // glvw 6 mb 1 tt1 10 r 0
s_nop 1                                            // v_accvgpr read vgpr after write vgpr: 2 wait states
ds_bpermute_b32 v5, v0, v5, offset:8               // permute edge values
s_waitcnt 0                                        // wait for swizzle operation
v_accvgpr_write_b32 acc42, v5                      // 
v_accvgpr_read_b32 v5, acc43                       // glvw 6 mb 1 tt1 11 r 0
s_nop 1                                            // v_accvgpr read vgpr after write vgpr: 2 wait states
ds_bpermute_b32 v5, v0, v5, offset:8               // permute edge values
s_waitcnt 0                                        // wait for swizzle operation
v_accvgpr_write_b32 acc43, v5                      // 
v_accvgpr_read_b32 v5, acc44                       // glvw 6 mb 1 tt1 12 r 0
s_nop 1                                            // v_accvgpr read vgpr after write vgpr: 2 wait states
ds_bpermute_b32 v5, v0, v5, offset:8               // permute edge values
s_waitcnt 0                                        // wait for swizzle operation
v_accvgpr_write_b32 acc44, v5                      // 
v_accvgpr_read_b32 v5, acc45                       // glvw 6 mb 1 tt1 13 r 0
s_nop 1                                            // v_accvgpr read vgpr after write vgpr: 2 wait states
ds_bpermute_b32 v5, v0, v5, offset:8               // permute edge values
s_waitcnt 0                                        // wait for swizzle operation
v_accvgpr_write_b32 acc45, v5                      // 
v_accvgpr_read_b32 v5, acc46                       // glvw 6 mb 1 tt1 14 r 0
s_nop 1                                            // v_accvgpr read vgpr after write vgpr: 2 wait states
ds_bpermute_b32 v5, v0, v5, offset:8               // permute edge values
s_waitcnt 0                                        // wait for swizzle operation
v_accvgpr_write_b32 acc46, v5                      // 
v_accvgpr_read_b32 v5, acc47                       // glvw 6 mb 1 tt1 15 r 0
s_nop 1                                            // v_accvgpr read vgpr after write vgpr: 2 wait states
ds_bpermute_b32 v5, v0, v5, offset:8               // permute edge values
s_waitcnt 0                                        // wait for swizzle operation
v_accvgpr_write_b32 acc47, v5                      // 
v_accvgpr_read_b32 v5, acc48                       // glvw 6 mb 1 tt1 16 r 0
s_nop 1                                            // v_accvgpr read vgpr after write vgpr: 2 wait states
ds_bpermute_b32 v5, v0, v5, offset:8               // permute edge values
s_waitcnt 0                                        // wait for swizzle operation
v_accvgpr_write_b32 acc48, v5                      // 
v_accvgpr_read_b32 v5, acc49                       // glvw 6 mb 1 tt1 17 r 0
s_nop 1                                            // v_accvgpr read vgpr after write vgpr: 2 wait states
ds_bpermute_b32 v5, v0, v5, offset:8               // permute edge values
s_waitcnt 0                                        // wait for swizzle operation
v_accvgpr_write_b32 acc49, v5                      // 
v_accvgpr_read_b32 v5, acc50                       // glvw 6 mb 1 tt1 18 r 0
s_nop 1                                            // v_accvgpr read vgpr after write vgpr: 2 wait states
ds_bpermute_b32 v5, v0, v5, offset:8               // permute edge values
s_waitcnt 0                                        // wait for swizzle operation
v_accvgpr_write_b32 acc50, v5                      // 
v_accvgpr_read_b32 v5, acc51                       // glvw 6 mb 1 tt1 19 r 0
s_nop 1                                            // v_accvgpr read vgpr after write vgpr: 2 wait states
ds_bpermute_b32 v5, v0, v5, offset:8               // permute edge values
s_waitcnt 0                                        // wait for swizzle operation
v_accvgpr_write_b32 acc51, v5                      // 
v_accvgpr_read_b32 v5, acc52                       // glvw 6 mb 1 tt1 20 r 0
s_nop 1                                            // v_accvgpr read vgpr after write vgpr: 2 wait states
ds_bpermute_b32 v5, v0, v5, offset:8               // permute edge values
s_waitcnt 0                                        // wait for swizzle operation
v_accvgpr_write_b32 acc52, v5                      // 
v_accvgpr_read_b32 v5, acc53                       // glvw 6 mb 1 tt1 21 r 0
s_nop 1                                            // v_accvgpr read vgpr after write vgpr: 2 wait states
ds_bpermute_b32 v5, v0, v5, offset:8               // permute edge values
s_waitcnt 0                                        // wait for swizzle operation
v_accvgpr_write_b32 acc53, v5                      // 
v_accvgpr_read_b32 v5, acc54                       // glvw 6 mb 1 tt1 22 r 0
s_nop 1                                            // v_accvgpr read vgpr after write vgpr: 2 wait states
ds_bpermute_b32 v5, v0, v5, offset:8               // permute edge values
s_waitcnt 0                                        // wait for swizzle operation
v_accvgpr_write_b32 acc54, v5                      // 
v_accvgpr_read_b32 v5, acc55                       // glvw 6 mb 1 tt1 23 r 0
s_nop 1                                            // v_accvgpr read vgpr after write vgpr: 2 wait states
ds_bpermute_b32 v5, v0, v5, offset:8               // permute edge values
s_waitcnt 0                                        // wait for swizzle operation
v_accvgpr_write_b32 acc55, v5                      // 
v_accvgpr_read_b32 v5, acc56                       // glvw 6 mb 1 tt1 24 r 0
s_nop 1                                            // v_accvgpr read vgpr after write vgpr: 2 wait states
ds_bpermute_b32 v5, v0, v5, offset:8               // permute edge values
s_waitcnt 0                                        // wait for swizzle operation
v_accvgpr_write_b32 acc56, v5                      // 
v_accvgpr_read_b32 v5, acc57                       // glvw 6 mb 1 tt1 25 r 0
s_nop 1                                            // v_accvgpr read vgpr after write vgpr: 2 wait states
ds_bpermute_b32 v5, v0, v5, offset:8               // permute edge values
s_waitcnt 0                                        // wait for swizzle operation
v_accvgpr_write_b32 acc57, v5                      // 
v_accvgpr_read_b32 v5, acc58                       // glvw 6 mb 1 tt1 26 r 0
s_nop 1                                            // v_accvgpr read vgpr after write vgpr: 2 wait states
ds_bpermute_b32 v5, v0, v5, offset:8               // permute edge values
s_waitcnt 0                                        // wait for swizzle operation
v_accvgpr_write_b32 acc58, v5                      // 
v_accvgpr_read_b32 v5, acc59                       // glvw 6 mb 1 tt1 27 r 0
s_nop 1                                            // v_accvgpr read vgpr after write vgpr: 2 wait states
ds_bpermute_b32 v5, v0, v5, offset:8               // permute edge values
s_waitcnt 0                                        // wait for swizzle operation
v_accvgpr_write_b32 acc59, v5                      // 
v_accvgpr_read_b32 v5, acc60                       // glvw 6 mb 1 tt1 28 r 0
s_nop 1                                            // v_accvgpr read vgpr after write vgpr: 2 wait states
ds_bpermute_b32 v5, v0, v5, offset:8               // permute edge values
s_waitcnt 0                                        // wait for swizzle operation
v_accvgpr_write_b32 acc60, v5                      // 
v_accvgpr_read_b32 v5, acc61                       // glvw 6 mb 1 tt1 29 r 0
s_nop 1                                            // v_accvgpr read vgpr after write vgpr: 2 wait states
ds_bpermute_b32 v5, v0, v5, offset:8               // permute edge values
s_waitcnt 0                                        // wait for swizzle operation
v_accvgpr_write_b32 acc61, v5                      // 
v_accvgpr_read_b32 v5, acc62                       // glvw 6 mb 1 tt1 30 r 0
s_nop 1                                            // v_accvgpr read vgpr after write vgpr: 2 wait states
ds_bpermute_b32 v5, v0, v5, offset:8               // permute edge values
s_waitcnt 0                                        // wait for swizzle operation
v_accvgpr_write_b32 acc62, v5                      // 
v_accvgpr_read_b32 v5, acc63                       // glvw 6 mb 1 tt1 31 r 0
s_nop 1                                            // v_accvgpr read vgpr after write vgpr: 2 wait states
ds_bpermute_b32 v5, v0, v5, offset:8               // permute edge values
s_waitcnt 0                                        // wait for swizzle operation
v_accvgpr_write_b32 acc63, v5                      // 
s_mov_b64 s[32:33], 0xFFFFFFFFFFFFFFFF             // to restore all threads active
s_or_saveexec_b64 vcc, s[32:33]                    // all threads active
s_branch label_0148                                // done shifting


/******************************************/
/* shift d1 r=6 mb=2 vw0                  */
/******************************************/
label_0120: // r6 mb2 vw0 
s_mov_b32 s32, 8                                   // 
_v_cmpx_eq_u32 s[32:33], v4, s32                   // is thread in edge glvw region
v_and_b32 v0, 63, v[vgprSerial]                    // permute register between threads
v_lshlrev_b32 v0, 2, v0                            // permute register between threads
v_accvgpr_read_b32 v5, acc64                       // glvw 6 mb 2 tt1 0 r 0
s_nop 1                                            // v_accvgpr read vgpr after write vgpr: 2 wait states
ds_bpermute_b32 v5, v0, v5, offset:8               // permute edge values
s_waitcnt 0                                        // wait for swizzle operation
v_accvgpr_write_b32 acc64, v5                      // 
v_accvgpr_read_b32 v5, acc65                       // glvw 6 mb 2 tt1 1 r 0
s_nop 1                                            // v_accvgpr read vgpr after write vgpr: 2 wait states
ds_bpermute_b32 v5, v0, v5, offset:8               // permute edge values
s_waitcnt 0                                        // wait for swizzle operation
v_accvgpr_write_b32 acc65, v5                      // 
v_accvgpr_read_b32 v5, acc66                       // glvw 6 mb 2 tt1 2 r 0
s_nop 1                                            // v_accvgpr read vgpr after write vgpr: 2 wait states
ds_bpermute_b32 v5, v0, v5, offset:8               // permute edge values
s_waitcnt 0                                        // wait for swizzle operation
v_accvgpr_write_b32 acc66, v5                      // 
v_accvgpr_read_b32 v5, acc67                       // glvw 6 mb 2 tt1 3 r 0
s_nop 1                                            // v_accvgpr read vgpr after write vgpr: 2 wait states
ds_bpermute_b32 v5, v0, v5, offset:8               // permute edge values
s_waitcnt 0                                        // wait for swizzle operation
v_accvgpr_write_b32 acc67, v5                      // 
v_accvgpr_read_b32 v5, acc68                       // glvw 6 mb 2 tt1 4 r 0
s_nop 1                                            // v_accvgpr read vgpr after write vgpr: 2 wait states
ds_bpermute_b32 v5, v0, v5, offset:8               // permute edge values
s_waitcnt 0                                        // wait for swizzle operation
v_accvgpr_write_b32 acc68, v5                      // 
v_accvgpr_read_b32 v5, acc69                       // glvw 6 mb 2 tt1 5 r 0
s_nop 1                                            // v_accvgpr read vgpr after write vgpr: 2 wait states
ds_bpermute_b32 v5, v0, v5, offset:8               // permute edge values
s_waitcnt 0                                        // wait for swizzle operation
v_accvgpr_write_b32 acc69, v5                      // 
v_accvgpr_read_b32 v5, acc70                       // glvw 6 mb 2 tt1 6 r 0
s_nop 1                                            // v_accvgpr read vgpr after write vgpr: 2 wait states
ds_bpermute_b32 v5, v0, v5, offset:8               // permute edge values
s_waitcnt 0                                        // wait for swizzle operation
v_accvgpr_write_b32 acc70, v5                      // 
v_accvgpr_read_b32 v5, acc71                       // glvw 6 mb 2 tt1 7 r 0
s_nop 1                                            // v_accvgpr read vgpr after write vgpr: 2 wait states
ds_bpermute_b32 v5, v0, v5, offset:8               // permute edge values
s_waitcnt 0                                        // wait for swizzle operation
v_accvgpr_write_b32 acc71, v5                      // 
v_accvgpr_read_b32 v5, acc72                       // glvw 6 mb 2 tt1 8 r 0
s_nop 1                                            // v_accvgpr read vgpr after write vgpr: 2 wait states
ds_bpermute_b32 v5, v0, v5, offset:8               // permute edge values
s_waitcnt 0                                        // wait for swizzle operation
v_accvgpr_write_b32 acc72, v5                      // 
v_accvgpr_read_b32 v5, acc73                       // glvw 6 mb 2 tt1 9 r 0
s_nop 1                                            // v_accvgpr read vgpr after write vgpr: 2 wait states
ds_bpermute_b32 v5, v0, v5, offset:8               // permute edge values
s_waitcnt 0                                        // wait for swizzle operation
v_accvgpr_write_b32 acc73, v5                      // 
v_accvgpr_read_b32 v5, acc74                       // glvw 6 mb 2 tt1 10 r 0
s_nop 1                                            // v_accvgpr read vgpr after write vgpr: 2 wait states
ds_bpermute_b32 v5, v0, v5, offset:8               // permute edge values
s_waitcnt 0                                        // wait for swizzle operation
v_accvgpr_write_b32 acc74, v5                      // 
v_accvgpr_read_b32 v5, acc75                       // glvw 6 mb 2 tt1 11 r 0
s_nop 1                                            // v_accvgpr read vgpr after write vgpr: 2 wait states
ds_bpermute_b32 v5, v0, v5, offset:8               // permute edge values
s_waitcnt 0                                        // wait for swizzle operation
v_accvgpr_write_b32 acc75, v5                      // 
v_accvgpr_read_b32 v5, acc76                       // glvw 6 mb 2 tt1 12 r 0
s_nop 1                                            // v_accvgpr read vgpr after write vgpr: 2 wait states
ds_bpermute_b32 v5, v0, v5, offset:8               // permute edge values
s_waitcnt 0                                        // wait for swizzle operation
v_accvgpr_write_b32 acc76, v5                      // 
v_accvgpr_read_b32 v5, acc77                       // glvw 6 mb 2 tt1 13 r 0
s_nop 1                                            // v_accvgpr read vgpr after write vgpr: 2 wait states
ds_bpermute_b32 v5, v0, v5, offset:8               // permute edge values
s_waitcnt 0                                        // wait for swizzle operation
v_accvgpr_write_b32 acc77, v5                      // 
v_accvgpr_read_b32 v5, acc78                       // glvw 6 mb 2 tt1 14 r 0
s_nop 1                                            // v_accvgpr read vgpr after write vgpr: 2 wait states
ds_bpermute_b32 v5, v0, v5, offset:8               // permute edge values
s_waitcnt 0                                        // wait for swizzle operation
v_accvgpr_write_b32 acc78, v5                      // 
v_accvgpr_read_b32 v5, acc79                       // glvw 6 mb 2 tt1 15 r 0
s_nop 1                                            // v_accvgpr read vgpr after write vgpr: 2 wait states
ds_bpermute_b32 v5, v0, v5, offset:8               // permute edge values
s_waitcnt 0                                        // wait for swizzle operation
v_accvgpr_write_b32 acc79, v5                      // 
v_accvgpr_read_b32 v5, acc80                       // glvw 6 mb 2 tt1 16 r 0
s_nop 1                                            // v_accvgpr read vgpr after write vgpr: 2 wait states
ds_bpermute_b32 v5, v0, v5, offset:8               // permute edge values
s_waitcnt 0                                        // wait for swizzle operation
v_accvgpr_write_b32 acc80, v5                      // 
v_accvgpr_read_b32 v5, acc81                       // glvw 6 mb 2 tt1 17 r 0
s_nop 1                                            // v_accvgpr read vgpr after write vgpr: 2 wait states
ds_bpermute_b32 v5, v0, v5, offset:8               // permute edge values
s_waitcnt 0                                        // wait for swizzle operation
v_accvgpr_write_b32 acc81, v5                      // 
v_accvgpr_read_b32 v5, acc82                       // glvw 6 mb 2 tt1 18 r 0
s_nop 1                                            // v_accvgpr read vgpr after write vgpr: 2 wait states
ds_bpermute_b32 v5, v0, v5, offset:8               // permute edge values
s_waitcnt 0                                        // wait for swizzle operation
v_accvgpr_write_b32 acc82, v5                      // 
v_accvgpr_read_b32 v5, acc83                       // glvw 6 mb 2 tt1 19 r 0
s_nop 1                                            // v_accvgpr read vgpr after write vgpr: 2 wait states
ds_bpermute_b32 v5, v0, v5, offset:8               // permute edge values
s_waitcnt 0                                        // wait for swizzle operation
v_accvgpr_write_b32 acc83, v5                      // 
v_accvgpr_read_b32 v5, acc84                       // glvw 6 mb 2 tt1 20 r 0
s_nop 1                                            // v_accvgpr read vgpr after write vgpr: 2 wait states
ds_bpermute_b32 v5, v0, v5, offset:8               // permute edge values
s_waitcnt 0                                        // wait for swizzle operation
v_accvgpr_write_b32 acc84, v5                      // 
v_accvgpr_read_b32 v5, acc85                       // glvw 6 mb 2 tt1 21 r 0
s_nop 1                                            // v_accvgpr read vgpr after write vgpr: 2 wait states
ds_bpermute_b32 v5, v0, v5, offset:8               // permute edge values
s_waitcnt 0                                        // wait for swizzle operation
v_accvgpr_write_b32 acc85, v5                      // 
v_accvgpr_read_b32 v5, acc86                       // glvw 6 mb 2 tt1 22 r 0
s_nop 1                                            // v_accvgpr read vgpr after write vgpr: 2 wait states
ds_bpermute_b32 v5, v0, v5, offset:8               // permute edge values
s_waitcnt 0                                        // wait for swizzle operation
v_accvgpr_write_b32 acc86, v5                      // 
v_accvgpr_read_b32 v5, acc87                       // glvw 6 mb 2 tt1 23 r 0
s_nop 1                                            // v_accvgpr read vgpr after write vgpr: 2 wait states
ds_bpermute_b32 v5, v0, v5, offset:8               // permute edge values
s_waitcnt 0                                        // wait for swizzle operation
v_accvgpr_write_b32 acc87, v5                      // 
v_accvgpr_read_b32 v5, acc88                       // glvw 6 mb 2 tt1 24 r 0
s_nop 1                                            // v_accvgpr read vgpr after write vgpr: 2 wait states
ds_bpermute_b32 v5, v0, v5, offset:8               // permute edge values
s_waitcnt 0                                        // wait for swizzle operation
v_accvgpr_write_b32 acc88, v5                      // 
v_accvgpr_read_b32 v5, acc89                       // glvw 6 mb 2 tt1 25 r 0
s_nop 1                                            // v_accvgpr read vgpr after write vgpr: 2 wait states
ds_bpermute_b32 v5, v0, v5, offset:8               // permute edge values
s_waitcnt 0                                        // wait for swizzle operation
v_accvgpr_write_b32 acc89, v5                      // 
v_accvgpr_read_b32 v5, acc90                       // glvw 6 mb 2 tt1 26 r 0
s_nop 1                                            // v_accvgpr read vgpr after write vgpr: 2 wait states
ds_bpermute_b32 v5, v0, v5, offset:8               // permute edge values
s_waitcnt 0                                        // wait for swizzle operation
v_accvgpr_write_b32 acc90, v5                      // 
v_accvgpr_read_b32 v5, acc91                       // glvw 6 mb 2 tt1 27 r 0
s_nop 1                                            // v_accvgpr read vgpr after write vgpr: 2 wait states
ds_bpermute_b32 v5, v0, v5, offset:8               // permute edge values
s_waitcnt 0                                        // wait for swizzle operation
v_accvgpr_write_b32 acc91, v5                      // 
v_accvgpr_read_b32 v5, acc92                       // glvw 6 mb 2 tt1 28 r 0
s_nop 1                                            // v_accvgpr read vgpr after write vgpr: 2 wait states
ds_bpermute_b32 v5, v0, v5, offset:8               // permute edge values
s_waitcnt 0                                        // wait for swizzle operation
v_accvgpr_write_b32 acc92, v5                      // 
v_accvgpr_read_b32 v5, acc93                       // glvw 6 mb 2 tt1 29 r 0
s_nop 1                                            // v_accvgpr read vgpr after write vgpr: 2 wait states
ds_bpermute_b32 v5, v0, v5, offset:8               // permute edge values
s_waitcnt 0                                        // wait for swizzle operation
v_accvgpr_write_b32 acc93, v5                      // 
v_accvgpr_read_b32 v5, acc94                       // glvw 6 mb 2 tt1 30 r 0
s_nop 1                                            // v_accvgpr read vgpr after write vgpr: 2 wait states
ds_bpermute_b32 v5, v0, v5, offset:8               // permute edge values
s_waitcnt 0                                        // wait for swizzle operation
v_accvgpr_write_b32 acc94, v5                      // 
v_accvgpr_read_b32 v5, acc95                       // glvw 6 mb 2 tt1 31 r 0
s_nop 1                                            // v_accvgpr read vgpr after write vgpr: 2 wait states
ds_bpermute_b32 v5, v0, v5, offset:8               // permute edge values
s_waitcnt 0                                        // wait for swizzle operation
v_accvgpr_write_b32 acc95, v5                      // 
s_mov_b64 s[32:33], 0xFFFFFFFFFFFFFFFF             // to restore all threads active
s_or_saveexec_b64 vcc, s[32:33]                    // all threads active
s_branch label_0148                                // done shifting


/******************************************/
/* shift d1 r=6 mb=3 vw0                  */
/******************************************/
label_0122: // r6 mb3 vw0 
s_mov_b32 s32, 12                                  // 
_v_cmpx_eq_u32 s[32:33], v4, s32                   // is thread in edge glvw region
v_and_b32 v0, 63, v[vgprSerial]                    // permute register between threads
v_lshlrev_b32 v0, 2, v0                            // permute register between threads
v_accvgpr_read_b32 v5, acc96                       // glvw 6 mb 3 tt1 0 r 0
s_nop 1                                            // v_accvgpr read vgpr after write vgpr: 2 wait states
ds_bpermute_b32 v5, v0, v5, offset:8               // permute edge values
s_waitcnt 0                                        // wait for swizzle operation
v_accvgpr_write_b32 acc96, v5                      // 
v_accvgpr_read_b32 v5, acc97                       // glvw 6 mb 3 tt1 1 r 0
s_nop 1                                            // v_accvgpr read vgpr after write vgpr: 2 wait states
ds_bpermute_b32 v5, v0, v5, offset:8               // permute edge values
s_waitcnt 0                                        // wait for swizzle operation
v_accvgpr_write_b32 acc97, v5                      // 
v_accvgpr_read_b32 v5, acc98                       // glvw 6 mb 3 tt1 2 r 0
s_nop 1                                            // v_accvgpr read vgpr after write vgpr: 2 wait states
ds_bpermute_b32 v5, v0, v5, offset:8               // permute edge values
s_waitcnt 0                                        // wait for swizzle operation
v_accvgpr_write_b32 acc98, v5                      // 
v_accvgpr_read_b32 v5, acc99                       // glvw 6 mb 3 tt1 3 r 0
s_nop 1                                            // v_accvgpr read vgpr after write vgpr: 2 wait states
ds_bpermute_b32 v5, v0, v5, offset:8               // permute edge values
s_waitcnt 0                                        // wait for swizzle operation
v_accvgpr_write_b32 acc99, v5                      // 
v_accvgpr_read_b32 v5, acc100                      // glvw 6 mb 3 tt1 4 r 0
s_nop 1                                            // v_accvgpr read vgpr after write vgpr: 2 wait states
ds_bpermute_b32 v5, v0, v5, offset:8               // permute edge values
s_waitcnt 0                                        // wait for swizzle operation
v_accvgpr_write_b32 acc100, v5                     // 
v_accvgpr_read_b32 v5, acc101                      // glvw 6 mb 3 tt1 5 r 0
s_nop 1                                            // v_accvgpr read vgpr after write vgpr: 2 wait states
ds_bpermute_b32 v5, v0, v5, offset:8               // permute edge values
s_waitcnt 0                                        // wait for swizzle operation
v_accvgpr_write_b32 acc101, v5                     // 
v_accvgpr_read_b32 v5, acc102                      // glvw 6 mb 3 tt1 6 r 0
s_nop 1                                            // v_accvgpr read vgpr after write vgpr: 2 wait states
ds_bpermute_b32 v5, v0, v5, offset:8               // permute edge values
s_waitcnt 0                                        // wait for swizzle operation
v_accvgpr_write_b32 acc102, v5                     // 
v_accvgpr_read_b32 v5, acc103                      // glvw 6 mb 3 tt1 7 r 0
s_nop 1                                            // v_accvgpr read vgpr after write vgpr: 2 wait states
ds_bpermute_b32 v5, v0, v5, offset:8               // permute edge values
s_waitcnt 0                                        // wait for swizzle operation
v_accvgpr_write_b32 acc103, v5                     // 
v_accvgpr_read_b32 v5, acc104                      // glvw 6 mb 3 tt1 8 r 0
s_nop 1                                            // v_accvgpr read vgpr after write vgpr: 2 wait states
ds_bpermute_b32 v5, v0, v5, offset:8               // permute edge values
s_waitcnt 0                                        // wait for swizzle operation
v_accvgpr_write_b32 acc104, v5                     // 
v_accvgpr_read_b32 v5, acc105                      // glvw 6 mb 3 tt1 9 r 0
s_nop 1                                            // v_accvgpr read vgpr after write vgpr: 2 wait states
ds_bpermute_b32 v5, v0, v5, offset:8               // permute edge values
s_waitcnt 0                                        // wait for swizzle operation
v_accvgpr_write_b32 acc105, v5                     // 
v_accvgpr_read_b32 v5, acc106                      // glvw 6 mb 3 tt1 10 r 0
s_nop 1                                            // v_accvgpr read vgpr after write vgpr: 2 wait states
ds_bpermute_b32 v5, v0, v5, offset:8               // permute edge values
s_waitcnt 0                                        // wait for swizzle operation
v_accvgpr_write_b32 acc106, v5                     // 
v_accvgpr_read_b32 v5, acc107                      // glvw 6 mb 3 tt1 11 r 0
s_nop 1                                            // v_accvgpr read vgpr after write vgpr: 2 wait states
ds_bpermute_b32 v5, v0, v5, offset:8               // permute edge values
s_waitcnt 0                                        // wait for swizzle operation
v_accvgpr_write_b32 acc107, v5                     // 
v_accvgpr_read_b32 v5, acc108                      // glvw 6 mb 3 tt1 12 r 0
s_nop 1                                            // v_accvgpr read vgpr after write vgpr: 2 wait states
ds_bpermute_b32 v5, v0, v5, offset:8               // permute edge values
s_waitcnt 0                                        // wait for swizzle operation
v_accvgpr_write_b32 acc108, v5                     // 
v_accvgpr_read_b32 v5, acc109                      // glvw 6 mb 3 tt1 13 r 0
s_nop 1                                            // v_accvgpr read vgpr after write vgpr: 2 wait states
ds_bpermute_b32 v5, v0, v5, offset:8               // permute edge values
s_waitcnt 0                                        // wait for swizzle operation
v_accvgpr_write_b32 acc109, v5                     // 
v_accvgpr_read_b32 v5, acc110                      // glvw 6 mb 3 tt1 14 r 0
s_nop 1                                            // v_accvgpr read vgpr after write vgpr: 2 wait states
ds_bpermute_b32 v5, v0, v5, offset:8               // permute edge values
s_waitcnt 0                                        // wait for swizzle operation
v_accvgpr_write_b32 acc110, v5                     // 
v_accvgpr_read_b32 v5, acc111                      // glvw 6 mb 3 tt1 15 r 0
s_nop 1                                            // v_accvgpr read vgpr after write vgpr: 2 wait states
ds_bpermute_b32 v5, v0, v5, offset:8               // permute edge values
s_waitcnt 0                                        // wait for swizzle operation
v_accvgpr_write_b32 acc111, v5                     // 
v_accvgpr_read_b32 v5, acc112                      // glvw 6 mb 3 tt1 16 r 0
s_nop 1                                            // v_accvgpr read vgpr after write vgpr: 2 wait states
ds_bpermute_b32 v5, v0, v5, offset:8               // permute edge values
s_waitcnt 0                                        // wait for swizzle operation
v_accvgpr_write_b32 acc112, v5                     // 
v_accvgpr_read_b32 v5, acc113                      // glvw 6 mb 3 tt1 17 r 0
s_nop 1                                            // v_accvgpr read vgpr after write vgpr: 2 wait states
ds_bpermute_b32 v5, v0, v5, offset:8               // permute edge values
s_waitcnt 0                                        // wait for swizzle operation
v_accvgpr_write_b32 acc113, v5                     // 
v_accvgpr_read_b32 v5, acc114                      // glvw 6 mb 3 tt1 18 r 0
s_nop 1                                            // v_accvgpr read vgpr after write vgpr: 2 wait states
ds_bpermute_b32 v5, v0, v5, offset:8               // permute edge values
s_waitcnt 0                                        // wait for swizzle operation
v_accvgpr_write_b32 acc114, v5                     // 
v_accvgpr_read_b32 v5, acc115                      // glvw 6 mb 3 tt1 19 r 0
s_nop 1                                            // v_accvgpr read vgpr after write vgpr: 2 wait states
ds_bpermute_b32 v5, v0, v5, offset:8               // permute edge values
s_waitcnt 0                                        // wait for swizzle operation
v_accvgpr_write_b32 acc115, v5                     // 
v_accvgpr_read_b32 v5, acc116                      // glvw 6 mb 3 tt1 20 r 0
s_nop 1                                            // v_accvgpr read vgpr after write vgpr: 2 wait states
ds_bpermute_b32 v5, v0, v5, offset:8               // permute edge values
s_waitcnt 0                                        // wait for swizzle operation
v_accvgpr_write_b32 acc116, v5                     // 
v_accvgpr_read_b32 v5, acc117                      // glvw 6 mb 3 tt1 21 r 0
s_nop 1                                            // v_accvgpr read vgpr after write vgpr: 2 wait states
ds_bpermute_b32 v5, v0, v5, offset:8               // permute edge values
s_waitcnt 0                                        // wait for swizzle operation
v_accvgpr_write_b32 acc117, v5                     // 
v_accvgpr_read_b32 v5, acc118                      // glvw 6 mb 3 tt1 22 r 0
s_nop 1                                            // v_accvgpr read vgpr after write vgpr: 2 wait states
ds_bpermute_b32 v5, v0, v5, offset:8               // permute edge values
s_waitcnt 0                                        // wait for swizzle operation
v_accvgpr_write_b32 acc118, v5                     // 
v_accvgpr_read_b32 v5, acc119                      // glvw 6 mb 3 tt1 23 r 0
s_nop 1                                            // v_accvgpr read vgpr after write vgpr: 2 wait states
ds_bpermute_b32 v5, v0, v5, offset:8               // permute edge values
s_waitcnt 0                                        // wait for swizzle operation
v_accvgpr_write_b32 acc119, v5                     // 
v_accvgpr_read_b32 v5, acc120                      // glvw 6 mb 3 tt1 24 r 0
s_nop 1                                            // v_accvgpr read vgpr after write vgpr: 2 wait states
ds_bpermute_b32 v5, v0, v5, offset:8               // permute edge values
s_waitcnt 0                                        // wait for swizzle operation
v_accvgpr_write_b32 acc120, v5                     // 
v_accvgpr_read_b32 v5, acc121                      // glvw 6 mb 3 tt1 25 r 0
s_nop 1                                            // v_accvgpr read vgpr after write vgpr: 2 wait states
ds_bpermute_b32 v5, v0, v5, offset:8               // permute edge values
s_waitcnt 0                                        // wait for swizzle operation
v_accvgpr_write_b32 acc121, v5                     // 
v_accvgpr_read_b32 v5, acc122                      // glvw 6 mb 3 tt1 26 r 0
s_nop 1                                            // v_accvgpr read vgpr after write vgpr: 2 wait states
ds_bpermute_b32 v5, v0, v5, offset:8               // permute edge values
s_waitcnt 0                                        // wait for swizzle operation
v_accvgpr_write_b32 acc122, v5                     // 
v_accvgpr_read_b32 v5, acc123                      // glvw 6 mb 3 tt1 27 r 0
s_nop 1                                            // v_accvgpr read vgpr after write vgpr: 2 wait states
ds_bpermute_b32 v5, v0, v5, offset:8               // permute edge values
s_waitcnt 0                                        // wait for swizzle operation
v_accvgpr_write_b32 acc123, v5                     // 
v_accvgpr_read_b32 v5, acc124                      // glvw 6 mb 3 tt1 28 r 0
s_nop 1                                            // v_accvgpr read vgpr after write vgpr: 2 wait states
ds_bpermute_b32 v5, v0, v5, offset:8               // permute edge values
s_waitcnt 0                                        // wait for swizzle operation
v_accvgpr_write_b32 acc124, v5                     // 
v_accvgpr_read_b32 v5, acc125                      // glvw 6 mb 3 tt1 29 r 0
s_nop 1                                            // v_accvgpr read vgpr after write vgpr: 2 wait states
ds_bpermute_b32 v5, v0, v5, offset:8               // permute edge values
s_waitcnt 0                                        // wait for swizzle operation
v_accvgpr_write_b32 acc125, v5                     // 
v_accvgpr_read_b32 v5, acc126                      // glvw 6 mb 3 tt1 30 r 0
s_nop 1                                            // v_accvgpr read vgpr after write vgpr: 2 wait states
ds_bpermute_b32 v5, v0, v5, offset:8               // permute edge values
s_waitcnt 0                                        // wait for swizzle operation
v_accvgpr_write_b32 acc126, v5                     // 
v_accvgpr_read_b32 v5, acc127                      // glvw 6 mb 3 tt1 31 r 0
s_nop 1                                            // v_accvgpr read vgpr after write vgpr: 2 wait states
ds_bpermute_b32 v5, v0, v5, offset:8               // permute edge values
s_waitcnt 0                                        // wait for swizzle operation
v_accvgpr_write_b32 acc127, v5                     // 
s_mov_b64 s[32:33], 0xFFFFFFFFFFFFFFFF             // to restore all threads active
s_or_saveexec_b64 vcc, s[32:33]                    // all threads active
s_branch label_0148                                // done shifting


/******************************************/
/* shift d1 r=6 mb=4 vw0                  */
/******************************************/
label_0124: // r6 mb4 vw0 
s_mov_b32 s32, 16                                  // 
_v_cmpx_eq_u32 s[32:33], v4, s32                   // is thread in edge glvw region
v_and_b32 v0, 63, v[vgprSerial]                    // permute register between threads
v_lshlrev_b32 v0, 2, v0                            // permute register between threads
v_accvgpr_read_b32 v5, acc128                      // glvw 6 mb 4 tt1 0 r 0
s_nop 1                                            // v_accvgpr read vgpr after write vgpr: 2 wait states
ds_bpermute_b32 v5, v0, v5, offset:8               // permute edge values
s_waitcnt 0                                        // wait for swizzle operation
v_accvgpr_write_b32 acc128, v5                     // 
v_accvgpr_read_b32 v5, acc129                      // glvw 6 mb 4 tt1 1 r 0
s_nop 1                                            // v_accvgpr read vgpr after write vgpr: 2 wait states
ds_bpermute_b32 v5, v0, v5, offset:8               // permute edge values
s_waitcnt 0                                        // wait for swizzle operation
v_accvgpr_write_b32 acc129, v5                     // 
v_accvgpr_read_b32 v5, acc130                      // glvw 6 mb 4 tt1 2 r 0
s_nop 1                                            // v_accvgpr read vgpr after write vgpr: 2 wait states
ds_bpermute_b32 v5, v0, v5, offset:8               // permute edge values
s_waitcnt 0                                        // wait for swizzle operation
v_accvgpr_write_b32 acc130, v5                     // 
v_accvgpr_read_b32 v5, acc131                      // glvw 6 mb 4 tt1 3 r 0
s_nop 1                                            // v_accvgpr read vgpr after write vgpr: 2 wait states
ds_bpermute_b32 v5, v0, v5, offset:8               // permute edge values
s_waitcnt 0                                        // wait for swizzle operation
v_accvgpr_write_b32 acc131, v5                     // 
v_accvgpr_read_b32 v5, acc132                      // glvw 6 mb 4 tt1 4 r 0
s_nop 1                                            // v_accvgpr read vgpr after write vgpr: 2 wait states
ds_bpermute_b32 v5, v0, v5, offset:8               // permute edge values
s_waitcnt 0                                        // wait for swizzle operation
v_accvgpr_write_b32 acc132, v5                     // 
v_accvgpr_read_b32 v5, acc133                      // glvw 6 mb 4 tt1 5 r 0
s_nop 1                                            // v_accvgpr read vgpr after write vgpr: 2 wait states
ds_bpermute_b32 v5, v0, v5, offset:8               // permute edge values
s_waitcnt 0                                        // wait for swizzle operation
v_accvgpr_write_b32 acc133, v5                     // 
v_accvgpr_read_b32 v5, acc134                      // glvw 6 mb 4 tt1 6 r 0
s_nop 1                                            // v_accvgpr read vgpr after write vgpr: 2 wait states
ds_bpermute_b32 v5, v0, v5, offset:8               // permute edge values
s_waitcnt 0                                        // wait for swizzle operation
v_accvgpr_write_b32 acc134, v5                     // 
v_accvgpr_read_b32 v5, acc135                      // glvw 6 mb 4 tt1 7 r 0
s_nop 1                                            // v_accvgpr read vgpr after write vgpr: 2 wait states
ds_bpermute_b32 v5, v0, v5, offset:8               // permute edge values
s_waitcnt 0                                        // wait for swizzle operation
v_accvgpr_write_b32 acc135, v5                     // 
v_accvgpr_read_b32 v5, acc136                      // glvw 6 mb 4 tt1 8 r 0
s_nop 1                                            // v_accvgpr read vgpr after write vgpr: 2 wait states
ds_bpermute_b32 v5, v0, v5, offset:8               // permute edge values
s_waitcnt 0                                        // wait for swizzle operation
v_accvgpr_write_b32 acc136, v5                     // 
v_accvgpr_read_b32 v5, acc137                      // glvw 6 mb 4 tt1 9 r 0
s_nop 1                                            // v_accvgpr read vgpr after write vgpr: 2 wait states
ds_bpermute_b32 v5, v0, v5, offset:8               // permute edge values
s_waitcnt 0                                        // wait for swizzle operation
v_accvgpr_write_b32 acc137, v5                     // 
v_accvgpr_read_b32 v5, acc138                      // glvw 6 mb 4 tt1 10 r 0
s_nop 1                                            // v_accvgpr read vgpr after write vgpr: 2 wait states
ds_bpermute_b32 v5, v0, v5, offset:8               // permute edge values
s_waitcnt 0                                        // wait for swizzle operation
v_accvgpr_write_b32 acc138, v5                     // 
v_accvgpr_read_b32 v5, acc139                      // glvw 6 mb 4 tt1 11 r 0
s_nop 1                                            // v_accvgpr read vgpr after write vgpr: 2 wait states
ds_bpermute_b32 v5, v0, v5, offset:8               // permute edge values
s_waitcnt 0                                        // wait for swizzle operation
v_accvgpr_write_b32 acc139, v5                     // 
v_accvgpr_read_b32 v5, acc140                      // glvw 6 mb 4 tt1 12 r 0
s_nop 1                                            // v_accvgpr read vgpr after write vgpr: 2 wait states
ds_bpermute_b32 v5, v0, v5, offset:8               // permute edge values
s_waitcnt 0                                        // wait for swizzle operation
v_accvgpr_write_b32 acc140, v5                     // 
v_accvgpr_read_b32 v5, acc141                      // glvw 6 mb 4 tt1 13 r 0
s_nop 1                                            // v_accvgpr read vgpr after write vgpr: 2 wait states
ds_bpermute_b32 v5, v0, v5, offset:8               // permute edge values
s_waitcnt 0                                        // wait for swizzle operation
v_accvgpr_write_b32 acc141, v5                     // 
v_accvgpr_read_b32 v5, acc142                      // glvw 6 mb 4 tt1 14 r 0
s_nop 1                                            // v_accvgpr read vgpr after write vgpr: 2 wait states
ds_bpermute_b32 v5, v0, v5, offset:8               // permute edge values
s_waitcnt 0                                        // wait for swizzle operation
v_accvgpr_write_b32 acc142, v5                     // 
v_accvgpr_read_b32 v5, acc143                      // glvw 6 mb 4 tt1 15 r 0
s_nop 1                                            // v_accvgpr read vgpr after write vgpr: 2 wait states
ds_bpermute_b32 v5, v0, v5, offset:8               // permute edge values
s_waitcnt 0                                        // wait for swizzle operation
v_accvgpr_write_b32 acc143, v5                     // 
v_accvgpr_read_b32 v5, acc144                      // glvw 6 mb 4 tt1 16 r 0
s_nop 1                                            // v_accvgpr read vgpr after write vgpr: 2 wait states
ds_bpermute_b32 v5, v0, v5, offset:8               // permute edge values
s_waitcnt 0                                        // wait for swizzle operation
v_accvgpr_write_b32 acc144, v5                     // 
v_accvgpr_read_b32 v5, acc145                      // glvw 6 mb 4 tt1 17 r 0
s_nop 1                                            // v_accvgpr read vgpr after write vgpr: 2 wait states
ds_bpermute_b32 v5, v0, v5, offset:8               // permute edge values
s_waitcnt 0                                        // wait for swizzle operation
v_accvgpr_write_b32 acc145, v5                     // 
v_accvgpr_read_b32 v5, acc146                      // glvw 6 mb 4 tt1 18 r 0
s_nop 1                                            // v_accvgpr read vgpr after write vgpr: 2 wait states
ds_bpermute_b32 v5, v0, v5, offset:8               // permute edge values
s_waitcnt 0                                        // wait for swizzle operation
v_accvgpr_write_b32 acc146, v5                     // 
v_accvgpr_read_b32 v5, acc147                      // glvw 6 mb 4 tt1 19 r 0
s_nop 1                                            // v_accvgpr read vgpr after write vgpr: 2 wait states
ds_bpermute_b32 v5, v0, v5, offset:8               // permute edge values
s_waitcnt 0                                        // wait for swizzle operation
v_accvgpr_write_b32 acc147, v5                     // 
v_accvgpr_read_b32 v5, acc148                      // glvw 6 mb 4 tt1 20 r 0
s_nop 1                                            // v_accvgpr read vgpr after write vgpr: 2 wait states
ds_bpermute_b32 v5, v0, v5, offset:8               // permute edge values
s_waitcnt 0                                        // wait for swizzle operation
v_accvgpr_write_b32 acc148, v5                     // 
v_accvgpr_read_b32 v5, acc149                      // glvw 6 mb 4 tt1 21 r 0
s_nop 1                                            // v_accvgpr read vgpr after write vgpr: 2 wait states
ds_bpermute_b32 v5, v0, v5, offset:8               // permute edge values
s_waitcnt 0                                        // wait for swizzle operation
v_accvgpr_write_b32 acc149, v5                     // 
v_accvgpr_read_b32 v5, acc150                      // glvw 6 mb 4 tt1 22 r 0
s_nop 1                                            // v_accvgpr read vgpr after write vgpr: 2 wait states
ds_bpermute_b32 v5, v0, v5, offset:8               // permute edge values
s_waitcnt 0                                        // wait for swizzle operation
v_accvgpr_write_b32 acc150, v5                     // 
v_accvgpr_read_b32 v5, acc151                      // glvw 6 mb 4 tt1 23 r 0
s_nop 1                                            // v_accvgpr read vgpr after write vgpr: 2 wait states
ds_bpermute_b32 v5, v0, v5, offset:8               // permute edge values
s_waitcnt 0                                        // wait for swizzle operation
v_accvgpr_write_b32 acc151, v5                     // 
v_accvgpr_read_b32 v5, acc152                      // glvw 6 mb 4 tt1 24 r 0
s_nop 1                                            // v_accvgpr read vgpr after write vgpr: 2 wait states
ds_bpermute_b32 v5, v0, v5, offset:8               // permute edge values
s_waitcnt 0                                        // wait for swizzle operation
v_accvgpr_write_b32 acc152, v5                     // 
v_accvgpr_read_b32 v5, acc153                      // glvw 6 mb 4 tt1 25 r 0
s_nop 1                                            // v_accvgpr read vgpr after write vgpr: 2 wait states
ds_bpermute_b32 v5, v0, v5, offset:8               // permute edge values
s_waitcnt 0                                        // wait for swizzle operation
v_accvgpr_write_b32 acc153, v5                     // 
v_accvgpr_read_b32 v5, acc154                      // glvw 6 mb 4 tt1 26 r 0
s_nop 1                                            // v_accvgpr read vgpr after write vgpr: 2 wait states
ds_bpermute_b32 v5, v0, v5, offset:8               // permute edge values
s_waitcnt 0                                        // wait for swizzle operation
v_accvgpr_write_b32 acc154, v5                     // 
v_accvgpr_read_b32 v5, acc155                      // glvw 6 mb 4 tt1 27 r 0
s_nop 1                                            // v_accvgpr read vgpr after write vgpr: 2 wait states
ds_bpermute_b32 v5, v0, v5, offset:8               // permute edge values
s_waitcnt 0                                        // wait for swizzle operation
v_accvgpr_write_b32 acc155, v5                     // 
v_accvgpr_read_b32 v5, acc156                      // glvw 6 mb 4 tt1 28 r 0
s_nop 1                                            // v_accvgpr read vgpr after write vgpr: 2 wait states
ds_bpermute_b32 v5, v0, v5, offset:8               // permute edge values
s_waitcnt 0                                        // wait for swizzle operation
v_accvgpr_write_b32 acc156, v5                     // 
v_accvgpr_read_b32 v5, acc157                      // glvw 6 mb 4 tt1 29 r 0
s_nop 1                                            // v_accvgpr read vgpr after write vgpr: 2 wait states
ds_bpermute_b32 v5, v0, v5, offset:8               // permute edge values
s_waitcnt 0                                        // wait for swizzle operation
v_accvgpr_write_b32 acc157, v5                     // 
v_accvgpr_read_b32 v5, acc158                      // glvw 6 mb 4 tt1 30 r 0
s_nop 1                                            // v_accvgpr read vgpr after write vgpr: 2 wait states
ds_bpermute_b32 v5, v0, v5, offset:8               // permute edge values
s_waitcnt 0                                        // wait for swizzle operation
v_accvgpr_write_b32 acc158, v5                     // 
v_accvgpr_read_b32 v5, acc159                      // glvw 6 mb 4 tt1 31 r 0
s_nop 1                                            // v_accvgpr read vgpr after write vgpr: 2 wait states
ds_bpermute_b32 v5, v0, v5, offset:8               // permute edge values
s_waitcnt 0                                        // wait for swizzle operation
v_accvgpr_write_b32 acc159, v5                     // 
s_mov_b64 s[32:33], 0xFFFFFFFFFFFFFFFF             // to restore all threads active
s_or_saveexec_b64 vcc, s[32:33]                    // all threads active
s_branch label_0148                                // done shifting


/******************************************/
/* shift d1 r=6 mb=5 vw0                  */
/******************************************/
label_0126: // r6 mb5 vw0 
s_mov_b32 s32, 20                                  // 
_v_cmpx_eq_u32 s[32:33], v4, s32                   // is thread in edge glvw region
v_and_b32 v0, 63, v[vgprSerial]                    // permute register between threads
v_lshlrev_b32 v0, 2, v0                            // permute register between threads
v_accvgpr_read_b32 v5, acc160                      // glvw 6 mb 5 tt1 0 r 0
s_nop 1                                            // v_accvgpr read vgpr after write vgpr: 2 wait states
ds_bpermute_b32 v5, v0, v5, offset:8               // permute edge values
s_waitcnt 0                                        // wait for swizzle operation
v_accvgpr_write_b32 acc160, v5                     // 
v_accvgpr_read_b32 v5, acc161                      // glvw 6 mb 5 tt1 1 r 0
s_nop 1                                            // v_accvgpr read vgpr after write vgpr: 2 wait states
ds_bpermute_b32 v5, v0, v5, offset:8               // permute edge values
s_waitcnt 0                                        // wait for swizzle operation
v_accvgpr_write_b32 acc161, v5                     // 
v_accvgpr_read_b32 v5, acc162                      // glvw 6 mb 5 tt1 2 r 0
s_nop 1                                            // v_accvgpr read vgpr after write vgpr: 2 wait states
ds_bpermute_b32 v5, v0, v5, offset:8               // permute edge values
s_waitcnt 0                                        // wait for swizzle operation
v_accvgpr_write_b32 acc162, v5                     // 
v_accvgpr_read_b32 v5, acc163                      // glvw 6 mb 5 tt1 3 r 0
s_nop 1                                            // v_accvgpr read vgpr after write vgpr: 2 wait states
ds_bpermute_b32 v5, v0, v5, offset:8               // permute edge values
s_waitcnt 0                                        // wait for swizzle operation
v_accvgpr_write_b32 acc163, v5                     // 
v_accvgpr_read_b32 v5, acc164                      // glvw 6 mb 5 tt1 4 r 0
s_nop 1                                            // v_accvgpr read vgpr after write vgpr: 2 wait states
ds_bpermute_b32 v5, v0, v5, offset:8               // permute edge values
s_waitcnt 0                                        // wait for swizzle operation
v_accvgpr_write_b32 acc164, v5                     // 
v_accvgpr_read_b32 v5, acc165                      // glvw 6 mb 5 tt1 5 r 0
s_nop 1                                            // v_accvgpr read vgpr after write vgpr: 2 wait states
ds_bpermute_b32 v5, v0, v5, offset:8               // permute edge values
s_waitcnt 0                                        // wait for swizzle operation
v_accvgpr_write_b32 acc165, v5                     // 
v_accvgpr_read_b32 v5, acc166                      // glvw 6 mb 5 tt1 6 r 0
s_nop 1                                            // v_accvgpr read vgpr after write vgpr: 2 wait states
ds_bpermute_b32 v5, v0, v5, offset:8               // permute edge values
s_waitcnt 0                                        // wait for swizzle operation
v_accvgpr_write_b32 acc166, v5                     // 
v_accvgpr_read_b32 v5, acc167                      // glvw 6 mb 5 tt1 7 r 0
s_nop 1                                            // v_accvgpr read vgpr after write vgpr: 2 wait states
ds_bpermute_b32 v5, v0, v5, offset:8               // permute edge values
s_waitcnt 0                                        // wait for swizzle operation
v_accvgpr_write_b32 acc167, v5                     // 
v_accvgpr_read_b32 v5, acc168                      // glvw 6 mb 5 tt1 8 r 0
s_nop 1                                            // v_accvgpr read vgpr after write vgpr: 2 wait states
ds_bpermute_b32 v5, v0, v5, offset:8               // permute edge values
s_waitcnt 0                                        // wait for swizzle operation
v_accvgpr_write_b32 acc168, v5                     // 
v_accvgpr_read_b32 v5, acc169                      // glvw 6 mb 5 tt1 9 r 0
s_nop 1                                            // v_accvgpr read vgpr after write vgpr: 2 wait states
ds_bpermute_b32 v5, v0, v5, offset:8               // permute edge values
s_waitcnt 0                                        // wait for swizzle operation
v_accvgpr_write_b32 acc169, v5                     // 
v_accvgpr_read_b32 v5, acc170                      // glvw 6 mb 5 tt1 10 r 0
s_nop 1                                            // v_accvgpr read vgpr after write vgpr: 2 wait states
ds_bpermute_b32 v5, v0, v5, offset:8               // permute edge values
s_waitcnt 0                                        // wait for swizzle operation
v_accvgpr_write_b32 acc170, v5                     // 
v_accvgpr_read_b32 v5, acc171                      // glvw 6 mb 5 tt1 11 r 0
s_nop 1                                            // v_accvgpr read vgpr after write vgpr: 2 wait states
ds_bpermute_b32 v5, v0, v5, offset:8               // permute edge values
s_waitcnt 0                                        // wait for swizzle operation
v_accvgpr_write_b32 acc171, v5                     // 
v_accvgpr_read_b32 v5, acc172                      // glvw 6 mb 5 tt1 12 r 0
s_nop 1                                            // v_accvgpr read vgpr after write vgpr: 2 wait states
ds_bpermute_b32 v5, v0, v5, offset:8               // permute edge values
s_waitcnt 0                                        // wait for swizzle operation
v_accvgpr_write_b32 acc172, v5                     // 
v_accvgpr_read_b32 v5, acc173                      // glvw 6 mb 5 tt1 13 r 0
s_nop 1                                            // v_accvgpr read vgpr after write vgpr: 2 wait states
ds_bpermute_b32 v5, v0, v5, offset:8               // permute edge values
s_waitcnt 0                                        // wait for swizzle operation
v_accvgpr_write_b32 acc173, v5                     // 
v_accvgpr_read_b32 v5, acc174                      // glvw 6 mb 5 tt1 14 r 0
s_nop 1                                            // v_accvgpr read vgpr after write vgpr: 2 wait states
ds_bpermute_b32 v5, v0, v5, offset:8               // permute edge values
s_waitcnt 0                                        // wait for swizzle operation
v_accvgpr_write_b32 acc174, v5                     // 
v_accvgpr_read_b32 v5, acc175                      // glvw 6 mb 5 tt1 15 r 0
s_nop 1                                            // v_accvgpr read vgpr after write vgpr: 2 wait states
ds_bpermute_b32 v5, v0, v5, offset:8               // permute edge values
s_waitcnt 0                                        // wait for swizzle operation
v_accvgpr_write_b32 acc175, v5                     // 
v_accvgpr_read_b32 v5, acc176                      // glvw 6 mb 5 tt1 16 r 0
s_nop 1                                            // v_accvgpr read vgpr after write vgpr: 2 wait states
ds_bpermute_b32 v5, v0, v5, offset:8               // permute edge values
s_waitcnt 0                                        // wait for swizzle operation
v_accvgpr_write_b32 acc176, v5                     // 
v_accvgpr_read_b32 v5, acc177                      // glvw 6 mb 5 tt1 17 r 0
s_nop 1                                            // v_accvgpr read vgpr after write vgpr: 2 wait states
ds_bpermute_b32 v5, v0, v5, offset:8               // permute edge values
s_waitcnt 0                                        // wait for swizzle operation
v_accvgpr_write_b32 acc177, v5                     // 
v_accvgpr_read_b32 v5, acc178                      // glvw 6 mb 5 tt1 18 r 0
s_nop 1                                            // v_accvgpr read vgpr after write vgpr: 2 wait states
ds_bpermute_b32 v5, v0, v5, offset:8               // permute edge values
s_waitcnt 0                                        // wait for swizzle operation
v_accvgpr_write_b32 acc178, v5                     // 
v_accvgpr_read_b32 v5, acc179                      // glvw 6 mb 5 tt1 19 r 0
s_nop 1                                            // v_accvgpr read vgpr after write vgpr: 2 wait states
ds_bpermute_b32 v5, v0, v5, offset:8               // permute edge values
s_waitcnt 0                                        // wait for swizzle operation
v_accvgpr_write_b32 acc179, v5                     // 
v_accvgpr_read_b32 v5, acc180                      // glvw 6 mb 5 tt1 20 r 0
s_nop 1                                            // v_accvgpr read vgpr after write vgpr: 2 wait states
ds_bpermute_b32 v5, v0, v5, offset:8               // permute edge values
s_waitcnt 0                                        // wait for swizzle operation
v_accvgpr_write_b32 acc180, v5                     // 
v_accvgpr_read_b32 v5, acc181                      // glvw 6 mb 5 tt1 21 r 0
s_nop 1                                            // v_accvgpr read vgpr after write vgpr: 2 wait states
ds_bpermute_b32 v5, v0, v5, offset:8               // permute edge values
s_waitcnt 0                                        // wait for swizzle operation
v_accvgpr_write_b32 acc181, v5                     // 
v_accvgpr_read_b32 v5, acc182                      // glvw 6 mb 5 tt1 22 r 0
s_nop 1                                            // v_accvgpr read vgpr after write vgpr: 2 wait states
ds_bpermute_b32 v5, v0, v5, offset:8               // permute edge values
s_waitcnt 0                                        // wait for swizzle operation
v_accvgpr_write_b32 acc182, v5                     // 
v_accvgpr_read_b32 v5, acc183                      // glvw 6 mb 5 tt1 23 r 0
s_nop 1                                            // v_accvgpr read vgpr after write vgpr: 2 wait states
ds_bpermute_b32 v5, v0, v5, offset:8               // permute edge values
s_waitcnt 0                                        // wait for swizzle operation
v_accvgpr_write_b32 acc183, v5                     // 
v_accvgpr_read_b32 v5, acc184                      // glvw 6 mb 5 tt1 24 r 0
s_nop 1                                            // v_accvgpr read vgpr after write vgpr: 2 wait states
ds_bpermute_b32 v5, v0, v5, offset:8               // permute edge values
s_waitcnt 0                                        // wait for swizzle operation
v_accvgpr_write_b32 acc184, v5                     // 
v_accvgpr_read_b32 v5, acc185                      // glvw 6 mb 5 tt1 25 r 0
s_nop 1                                            // v_accvgpr read vgpr after write vgpr: 2 wait states
ds_bpermute_b32 v5, v0, v5, offset:8               // permute edge values
s_waitcnt 0                                        // wait for swizzle operation
v_accvgpr_write_b32 acc185, v5                     // 
v_accvgpr_read_b32 v5, acc186                      // glvw 6 mb 5 tt1 26 r 0
s_nop 1                                            // v_accvgpr read vgpr after write vgpr: 2 wait states
ds_bpermute_b32 v5, v0, v5, offset:8               // permute edge values
s_waitcnt 0                                        // wait for swizzle operation
v_accvgpr_write_b32 acc186, v5                     // 
v_accvgpr_read_b32 v5, acc187                      // glvw 6 mb 5 tt1 27 r 0
s_nop 1                                            // v_accvgpr read vgpr after write vgpr: 2 wait states
ds_bpermute_b32 v5, v0, v5, offset:8               // permute edge values
s_waitcnt 0                                        // wait for swizzle operation
v_accvgpr_write_b32 acc187, v5                     // 
v_accvgpr_read_b32 v5, acc188                      // glvw 6 mb 5 tt1 28 r 0
s_nop 1                                            // v_accvgpr read vgpr after write vgpr: 2 wait states
ds_bpermute_b32 v5, v0, v5, offset:8               // permute edge values
s_waitcnt 0                                        // wait for swizzle operation
v_accvgpr_write_b32 acc188, v5                     // 
v_accvgpr_read_b32 v5, acc189                      // glvw 6 mb 5 tt1 29 r 0
s_nop 1                                            // v_accvgpr read vgpr after write vgpr: 2 wait states
ds_bpermute_b32 v5, v0, v5, offset:8               // permute edge values
s_waitcnt 0                                        // wait for swizzle operation
v_accvgpr_write_b32 acc189, v5                     // 
v_accvgpr_read_b32 v5, acc190                      // glvw 6 mb 5 tt1 30 r 0
s_nop 1                                            // v_accvgpr read vgpr after write vgpr: 2 wait states
ds_bpermute_b32 v5, v0, v5, offset:8               // permute edge values
s_waitcnt 0                                        // wait for swizzle operation
v_accvgpr_write_b32 acc190, v5                     // 
v_accvgpr_read_b32 v5, acc191                      // glvw 6 mb 5 tt1 31 r 0
s_nop 1                                            // v_accvgpr read vgpr after write vgpr: 2 wait states
ds_bpermute_b32 v5, v0, v5, offset:8               // permute edge values
s_waitcnt 0                                        // wait for swizzle operation
v_accvgpr_write_b32 acc191, v5                     // 
s_mov_b64 s[32:33], 0xFFFFFFFFFFFFFFFF             // to restore all threads active
s_or_saveexec_b64 vcc, s[32:33]                    // all threads active
s_branch label_0148                                // done shifting


/******************************************/
/* shift d1 r=6 mb=6 vw0                  */
/******************************************/
label_0128: // r6 mb6 vw0 
s_mov_b32 s32, 24                                  // 
_v_cmpx_eq_u32 s[32:33], v4, s32                   // is thread in edge glvw region
v_and_b32 v0, 63, v[vgprSerial]                    // permute register between threads
v_lshlrev_b32 v0, 2, v0                            // permute register between threads
v_accvgpr_read_b32 v5, acc192                      // glvw 6 mb 6 tt1 0 r 0
s_nop 1                                            // v_accvgpr read vgpr after write vgpr: 2 wait states
ds_bpermute_b32 v5, v0, v5, offset:8               // permute edge values
s_waitcnt 0                                        // wait for swizzle operation
v_accvgpr_write_b32 acc192, v5                     // 
v_accvgpr_read_b32 v5, acc193                      // glvw 6 mb 6 tt1 1 r 0
s_nop 1                                            // v_accvgpr read vgpr after write vgpr: 2 wait states
ds_bpermute_b32 v5, v0, v5, offset:8               // permute edge values
s_waitcnt 0                                        // wait for swizzle operation
v_accvgpr_write_b32 acc193, v5                     // 
v_accvgpr_read_b32 v5, acc194                      // glvw 6 mb 6 tt1 2 r 0
s_nop 1                                            // v_accvgpr read vgpr after write vgpr: 2 wait states
ds_bpermute_b32 v5, v0, v5, offset:8               // permute edge values
s_waitcnt 0                                        // wait for swizzle operation
v_accvgpr_write_b32 acc194, v5                     // 
v_accvgpr_read_b32 v5, acc195                      // glvw 6 mb 6 tt1 3 r 0
s_nop 1                                            // v_accvgpr read vgpr after write vgpr: 2 wait states
ds_bpermute_b32 v5, v0, v5, offset:8               // permute edge values
s_waitcnt 0                                        // wait for swizzle operation
v_accvgpr_write_b32 acc195, v5                     // 
v_accvgpr_read_b32 v5, acc196                      // glvw 6 mb 6 tt1 4 r 0
s_nop 1                                            // v_accvgpr read vgpr after write vgpr: 2 wait states
ds_bpermute_b32 v5, v0, v5, offset:8               // permute edge values
s_waitcnt 0                                        // wait for swizzle operation
v_accvgpr_write_b32 acc196, v5                     // 
v_accvgpr_read_b32 v5, acc197                      // glvw 6 mb 6 tt1 5 r 0
s_nop 1                                            // v_accvgpr read vgpr after write vgpr: 2 wait states
ds_bpermute_b32 v5, v0, v5, offset:8               // permute edge values
s_waitcnt 0                                        // wait for swizzle operation
v_accvgpr_write_b32 acc197, v5                     // 
v_accvgpr_read_b32 v5, acc198                      // glvw 6 mb 6 tt1 6 r 0
s_nop 1                                            // v_accvgpr read vgpr after write vgpr: 2 wait states
ds_bpermute_b32 v5, v0, v5, offset:8               // permute edge values
s_waitcnt 0                                        // wait for swizzle operation
v_accvgpr_write_b32 acc198, v5                     // 
v_accvgpr_read_b32 v5, acc199                      // glvw 6 mb 6 tt1 7 r 0
s_nop 1                                            // v_accvgpr read vgpr after write vgpr: 2 wait states
ds_bpermute_b32 v5, v0, v5, offset:8               // permute edge values
s_waitcnt 0                                        // wait for swizzle operation
v_accvgpr_write_b32 acc199, v5                     // 
v_accvgpr_read_b32 v5, acc200                      // glvw 6 mb 6 tt1 8 r 0
s_nop 1                                            // v_accvgpr read vgpr after write vgpr: 2 wait states
ds_bpermute_b32 v5, v0, v5, offset:8               // permute edge values
s_waitcnt 0                                        // wait for swizzle operation
v_accvgpr_write_b32 acc200, v5                     // 
v_accvgpr_read_b32 v5, acc201                      // glvw 6 mb 6 tt1 9 r 0
s_nop 1                                            // v_accvgpr read vgpr after write vgpr: 2 wait states
ds_bpermute_b32 v5, v0, v5, offset:8               // permute edge values
s_waitcnt 0                                        // wait for swizzle operation
v_accvgpr_write_b32 acc201, v5                     // 
v_accvgpr_read_b32 v5, acc202                      // glvw 6 mb 6 tt1 10 r 0
s_nop 1                                            // v_accvgpr read vgpr after write vgpr: 2 wait states
ds_bpermute_b32 v5, v0, v5, offset:8               // permute edge values
s_waitcnt 0                                        // wait for swizzle operation
v_accvgpr_write_b32 acc202, v5                     // 
v_accvgpr_read_b32 v5, acc203                      // glvw 6 mb 6 tt1 11 r 0
s_nop 1                                            // v_accvgpr read vgpr after write vgpr: 2 wait states
ds_bpermute_b32 v5, v0, v5, offset:8               // permute edge values
s_waitcnt 0                                        // wait for swizzle operation
v_accvgpr_write_b32 acc203, v5                     // 
v_accvgpr_read_b32 v5, acc204                      // glvw 6 mb 6 tt1 12 r 0
s_nop 1                                            // v_accvgpr read vgpr after write vgpr: 2 wait states
ds_bpermute_b32 v5, v0, v5, offset:8               // permute edge values
s_waitcnt 0                                        // wait for swizzle operation
v_accvgpr_write_b32 acc204, v5                     // 
v_accvgpr_read_b32 v5, acc205                      // glvw 6 mb 6 tt1 13 r 0
s_nop 1                                            // v_accvgpr read vgpr after write vgpr: 2 wait states
ds_bpermute_b32 v5, v0, v5, offset:8               // permute edge values
s_waitcnt 0                                        // wait for swizzle operation
v_accvgpr_write_b32 acc205, v5                     // 
v_accvgpr_read_b32 v5, acc206                      // glvw 6 mb 6 tt1 14 r 0
s_nop 1                                            // v_accvgpr read vgpr after write vgpr: 2 wait states
ds_bpermute_b32 v5, v0, v5, offset:8               // permute edge values
s_waitcnt 0                                        // wait for swizzle operation
v_accvgpr_write_b32 acc206, v5                     // 
v_accvgpr_read_b32 v5, acc207                      // glvw 6 mb 6 tt1 15 r 0
s_nop 1                                            // v_accvgpr read vgpr after write vgpr: 2 wait states
ds_bpermute_b32 v5, v0, v5, offset:8               // permute edge values
s_waitcnt 0                                        // wait for swizzle operation
v_accvgpr_write_b32 acc207, v5                     // 
v_accvgpr_read_b32 v5, acc208                      // glvw 6 mb 6 tt1 16 r 0
s_nop 1                                            // v_accvgpr read vgpr after write vgpr: 2 wait states
ds_bpermute_b32 v5, v0, v5, offset:8               // permute edge values
s_waitcnt 0                                        // wait for swizzle operation
v_accvgpr_write_b32 acc208, v5                     // 
v_accvgpr_read_b32 v5, acc209                      // glvw 6 mb 6 tt1 17 r 0
s_nop 1                                            // v_accvgpr read vgpr after write vgpr: 2 wait states
ds_bpermute_b32 v5, v0, v5, offset:8               // permute edge values
s_waitcnt 0                                        // wait for swizzle operation
v_accvgpr_write_b32 acc209, v5                     // 
v_accvgpr_read_b32 v5, acc210                      // glvw 6 mb 6 tt1 18 r 0
s_nop 1                                            // v_accvgpr read vgpr after write vgpr: 2 wait states
ds_bpermute_b32 v5, v0, v5, offset:8               // permute edge values
s_waitcnt 0                                        // wait for swizzle operation
v_accvgpr_write_b32 acc210, v5                     // 
v_accvgpr_read_b32 v5, acc211                      // glvw 6 mb 6 tt1 19 r 0
s_nop 1                                            // v_accvgpr read vgpr after write vgpr: 2 wait states
ds_bpermute_b32 v5, v0, v5, offset:8               // permute edge values
s_waitcnt 0                                        // wait for swizzle operation
v_accvgpr_write_b32 acc211, v5                     // 
v_accvgpr_read_b32 v5, acc212                      // glvw 6 mb 6 tt1 20 r 0
s_nop 1                                            // v_accvgpr read vgpr after write vgpr: 2 wait states
ds_bpermute_b32 v5, v0, v5, offset:8               // permute edge values
s_waitcnt 0                                        // wait for swizzle operation
v_accvgpr_write_b32 acc212, v5                     // 
v_accvgpr_read_b32 v5, acc213                      // glvw 6 mb 6 tt1 21 r 0
s_nop 1                                            // v_accvgpr read vgpr after write vgpr: 2 wait states
ds_bpermute_b32 v5, v0, v5, offset:8               // permute edge values
s_waitcnt 0                                        // wait for swizzle operation
v_accvgpr_write_b32 acc213, v5                     // 
v_accvgpr_read_b32 v5, acc214                      // glvw 6 mb 6 tt1 22 r 0
s_nop 1                                            // v_accvgpr read vgpr after write vgpr: 2 wait states
ds_bpermute_b32 v5, v0, v5, offset:8               // permute edge values
s_waitcnt 0                                        // wait for swizzle operation
v_accvgpr_write_b32 acc214, v5                     // 
v_accvgpr_read_b32 v5, acc215                      // glvw 6 mb 6 tt1 23 r 0
s_nop 1                                            // v_accvgpr read vgpr after write vgpr: 2 wait states
ds_bpermute_b32 v5, v0, v5, offset:8               // permute edge values
s_waitcnt 0                                        // wait for swizzle operation
v_accvgpr_write_b32 acc215, v5                     // 
v_accvgpr_read_b32 v5, acc216                      // glvw 6 mb 6 tt1 24 r 0
s_nop 1                                            // v_accvgpr read vgpr after write vgpr: 2 wait states
ds_bpermute_b32 v5, v0, v5, offset:8               // permute edge values
s_waitcnt 0                                        // wait for swizzle operation
v_accvgpr_write_b32 acc216, v5                     // 
v_accvgpr_read_b32 v5, acc217                      // glvw 6 mb 6 tt1 25 r 0
s_nop 1                                            // v_accvgpr read vgpr after write vgpr: 2 wait states
ds_bpermute_b32 v5, v0, v5, offset:8               // permute edge values
s_waitcnt 0                                        // wait for swizzle operation
v_accvgpr_write_b32 acc217, v5                     // 
v_accvgpr_read_b32 v5, acc218                      // glvw 6 mb 6 tt1 26 r 0
s_nop 1                                            // v_accvgpr read vgpr after write vgpr: 2 wait states
ds_bpermute_b32 v5, v0, v5, offset:8               // permute edge values
s_waitcnt 0                                        // wait for swizzle operation
v_accvgpr_write_b32 acc218, v5                     // 
v_accvgpr_read_b32 v5, acc219                      // glvw 6 mb 6 tt1 27 r 0
s_nop 1                                            // v_accvgpr read vgpr after write vgpr: 2 wait states
ds_bpermute_b32 v5, v0, v5, offset:8               // permute edge values
s_waitcnt 0                                        // wait for swizzle operation
v_accvgpr_write_b32 acc219, v5                     // 
v_accvgpr_read_b32 v5, acc220                      // glvw 6 mb 6 tt1 28 r 0
s_nop 1                                            // v_accvgpr read vgpr after write vgpr: 2 wait states
ds_bpermute_b32 v5, v0, v5, offset:8               // permute edge values
s_waitcnt 0                                        // wait for swizzle operation
v_accvgpr_write_b32 acc220, v5                     // 
v_accvgpr_read_b32 v5, acc221                      // glvw 6 mb 6 tt1 29 r 0
s_nop 1                                            // v_accvgpr read vgpr after write vgpr: 2 wait states
ds_bpermute_b32 v5, v0, v5, offset:8               // permute edge values
s_waitcnt 0                                        // wait for swizzle operation
v_accvgpr_write_b32 acc221, v5                     // 
v_accvgpr_read_b32 v5, acc222                      // glvw 6 mb 6 tt1 30 r 0
s_nop 1                                            // v_accvgpr read vgpr after write vgpr: 2 wait states
ds_bpermute_b32 v5, v0, v5, offset:8               // permute edge values
s_waitcnt 0                                        // wait for swizzle operation
v_accvgpr_write_b32 acc222, v5                     // 
v_accvgpr_read_b32 v5, acc223                      // glvw 6 mb 6 tt1 31 r 0
s_nop 1                                            // v_accvgpr read vgpr after write vgpr: 2 wait states
ds_bpermute_b32 v5, v0, v5, offset:8               // permute edge values
s_waitcnt 0                                        // wait for swizzle operation
v_accvgpr_write_b32 acc223, v5                     // 
s_mov_b64 s[32:33], 0xFFFFFFFFFFFFFFFF             // to restore all threads active
s_or_saveexec_b64 vcc, s[32:33]                    // all threads active
s_branch label_0148                                // done shifting


/******************************************/
/* shift d1 r=6 mb=7 vw0                  */
/******************************************/
label_0130: // r6 mb7 vw0 
s_mov_b32 s32, 28                                  // 
_v_cmpx_eq_u32 s[32:33], v4, s32                   // is thread in edge glvw region
v_and_b32 v0, 63, v[vgprSerial]                    // permute register between threads
v_lshlrev_b32 v0, 2, v0                            // permute register between threads
v_accvgpr_read_b32 v5, acc224                      // glvw 6 mb 7 tt1 0 r 0
s_nop 1                                            // v_accvgpr read vgpr after write vgpr: 2 wait states
ds_bpermute_b32 v5, v0, v5, offset:8               // permute edge values
s_waitcnt 0                                        // wait for swizzle operation
v_accvgpr_write_b32 acc224, v5                     // 
v_accvgpr_read_b32 v5, acc225                      // glvw 6 mb 7 tt1 1 r 0
s_nop 1                                            // v_accvgpr read vgpr after write vgpr: 2 wait states
ds_bpermute_b32 v5, v0, v5, offset:8               // permute edge values
s_waitcnt 0                                        // wait for swizzle operation
v_accvgpr_write_b32 acc225, v5                     // 
v_accvgpr_read_b32 v5, acc226                      // glvw 6 mb 7 tt1 2 r 0
s_nop 1                                            // v_accvgpr read vgpr after write vgpr: 2 wait states
ds_bpermute_b32 v5, v0, v5, offset:8               // permute edge values
s_waitcnt 0                                        // wait for swizzle operation
v_accvgpr_write_b32 acc226, v5                     // 
v_accvgpr_read_b32 v5, acc227                      // glvw 6 mb 7 tt1 3 r 0
s_nop 1                                            // v_accvgpr read vgpr after write vgpr: 2 wait states
ds_bpermute_b32 v5, v0, v5, offset:8               // permute edge values
s_waitcnt 0                                        // wait for swizzle operation
v_accvgpr_write_b32 acc227, v5                     // 
v_accvgpr_read_b32 v5, acc228                      // glvw 6 mb 7 tt1 4 r 0
s_nop 1                                            // v_accvgpr read vgpr after write vgpr: 2 wait states
ds_bpermute_b32 v5, v0, v5, offset:8               // permute edge values
s_waitcnt 0                                        // wait for swizzle operation
v_accvgpr_write_b32 acc228, v5                     // 
v_accvgpr_read_b32 v5, acc229                      // glvw 6 mb 7 tt1 5 r 0
s_nop 1                                            // v_accvgpr read vgpr after write vgpr: 2 wait states
ds_bpermute_b32 v5, v0, v5, offset:8               // permute edge values
s_waitcnt 0                                        // wait for swizzle operation
v_accvgpr_write_b32 acc229, v5                     // 
v_accvgpr_read_b32 v5, acc230                      // glvw 6 mb 7 tt1 6 r 0
s_nop 1                                            // v_accvgpr read vgpr after write vgpr: 2 wait states
ds_bpermute_b32 v5, v0, v5, offset:8               // permute edge values
s_waitcnt 0                                        // wait for swizzle operation
v_accvgpr_write_b32 acc230, v5                     // 
v_accvgpr_read_b32 v5, acc231                      // glvw 6 mb 7 tt1 7 r 0
s_nop 1                                            // v_accvgpr read vgpr after write vgpr: 2 wait states
ds_bpermute_b32 v5, v0, v5, offset:8               // permute edge values
s_waitcnt 0                                        // wait for swizzle operation
v_accvgpr_write_b32 acc231, v5                     // 
v_accvgpr_read_b32 v5, acc232                      // glvw 6 mb 7 tt1 8 r 0
s_nop 1                                            // v_accvgpr read vgpr after write vgpr: 2 wait states
ds_bpermute_b32 v5, v0, v5, offset:8               // permute edge values
s_waitcnt 0                                        // wait for swizzle operation
v_accvgpr_write_b32 acc232, v5                     // 
v_accvgpr_read_b32 v5, acc233                      // glvw 6 mb 7 tt1 9 r 0
s_nop 1                                            // v_accvgpr read vgpr after write vgpr: 2 wait states
ds_bpermute_b32 v5, v0, v5, offset:8               // permute edge values
s_waitcnt 0                                        // wait for swizzle operation
v_accvgpr_write_b32 acc233, v5                     // 
v_accvgpr_read_b32 v5, acc234                      // glvw 6 mb 7 tt1 10 r 0
s_nop 1                                            // v_accvgpr read vgpr after write vgpr: 2 wait states
ds_bpermute_b32 v5, v0, v5, offset:8               // permute edge values
s_waitcnt 0                                        // wait for swizzle operation
v_accvgpr_write_b32 acc234, v5                     // 
v_accvgpr_read_b32 v5, acc235                      // glvw 6 mb 7 tt1 11 r 0
s_nop 1                                            // v_accvgpr read vgpr after write vgpr: 2 wait states
ds_bpermute_b32 v5, v0, v5, offset:8               // permute edge values
s_waitcnt 0                                        // wait for swizzle operation
v_accvgpr_write_b32 acc235, v5                     // 
v_accvgpr_read_b32 v5, acc236                      // glvw 6 mb 7 tt1 12 r 0
s_nop 1                                            // v_accvgpr read vgpr after write vgpr: 2 wait states
ds_bpermute_b32 v5, v0, v5, offset:8               // permute edge values
s_waitcnt 0                                        // wait for swizzle operation
v_accvgpr_write_b32 acc236, v5                     // 
v_accvgpr_read_b32 v5, acc237                      // glvw 6 mb 7 tt1 13 r 0
s_nop 1                                            // v_accvgpr read vgpr after write vgpr: 2 wait states
ds_bpermute_b32 v5, v0, v5, offset:8               // permute edge values
s_waitcnt 0                                        // wait for swizzle operation
v_accvgpr_write_b32 acc237, v5                     // 
v_accvgpr_read_b32 v5, acc238                      // glvw 6 mb 7 tt1 14 r 0
s_nop 1                                            // v_accvgpr read vgpr after write vgpr: 2 wait states
ds_bpermute_b32 v5, v0, v5, offset:8               // permute edge values
s_waitcnt 0                                        // wait for swizzle operation
v_accvgpr_write_b32 acc238, v5                     // 
v_accvgpr_read_b32 v5, acc239                      // glvw 6 mb 7 tt1 15 r 0
s_nop 1                                            // v_accvgpr read vgpr after write vgpr: 2 wait states
ds_bpermute_b32 v5, v0, v5, offset:8               // permute edge values
s_waitcnt 0                                        // wait for swizzle operation
v_accvgpr_write_b32 acc239, v5                     // 
v_accvgpr_read_b32 v5, acc240                      // glvw 6 mb 7 tt1 16 r 0
s_nop 1                                            // v_accvgpr read vgpr after write vgpr: 2 wait states
ds_bpermute_b32 v5, v0, v5, offset:8               // permute edge values
s_waitcnt 0                                        // wait for swizzle operation
v_accvgpr_write_b32 acc240, v5                     // 
v_accvgpr_read_b32 v5, acc241                      // glvw 6 mb 7 tt1 17 r 0
s_nop 1                                            // v_accvgpr read vgpr after write vgpr: 2 wait states
ds_bpermute_b32 v5, v0, v5, offset:8               // permute edge values
s_waitcnt 0                                        // wait for swizzle operation
v_accvgpr_write_b32 acc241, v5                     // 
v_accvgpr_read_b32 v5, acc242                      // glvw 6 mb 7 tt1 18 r 0
s_nop 1                                            // v_accvgpr read vgpr after write vgpr: 2 wait states
ds_bpermute_b32 v5, v0, v5, offset:8               // permute edge values
s_waitcnt 0                                        // wait for swizzle operation
v_accvgpr_write_b32 acc242, v5                     // 
v_accvgpr_read_b32 v5, acc243                      // glvw 6 mb 7 tt1 19 r 0
s_nop 1                                            // v_accvgpr read vgpr after write vgpr: 2 wait states
ds_bpermute_b32 v5, v0, v5, offset:8               // permute edge values
s_waitcnt 0                                        // wait for swizzle operation
v_accvgpr_write_b32 acc243, v5                     // 
v_accvgpr_read_b32 v5, acc244                      // glvw 6 mb 7 tt1 20 r 0
s_nop 1                                            // v_accvgpr read vgpr after write vgpr: 2 wait states
ds_bpermute_b32 v5, v0, v5, offset:8               // permute edge values
s_waitcnt 0                                        // wait for swizzle operation
v_accvgpr_write_b32 acc244, v5                     // 
v_accvgpr_read_b32 v5, acc245                      // glvw 6 mb 7 tt1 21 r 0
s_nop 1                                            // v_accvgpr read vgpr after write vgpr: 2 wait states
ds_bpermute_b32 v5, v0, v5, offset:8               // permute edge values
s_waitcnt 0                                        // wait for swizzle operation
v_accvgpr_write_b32 acc245, v5                     // 
v_accvgpr_read_b32 v5, acc246                      // glvw 6 mb 7 tt1 22 r 0
s_nop 1                                            // v_accvgpr read vgpr after write vgpr: 2 wait states
ds_bpermute_b32 v5, v0, v5, offset:8               // permute edge values
s_waitcnt 0                                        // wait for swizzle operation
v_accvgpr_write_b32 acc246, v5                     // 
v_accvgpr_read_b32 v5, acc247                      // glvw 6 mb 7 tt1 23 r 0
s_nop 1                                            // v_accvgpr read vgpr after write vgpr: 2 wait states
ds_bpermute_b32 v5, v0, v5, offset:8               // permute edge values
s_waitcnt 0                                        // wait for swizzle operation
v_accvgpr_write_b32 acc247, v5                     // 
v_accvgpr_read_b32 v5, acc248                      // glvw 6 mb 7 tt1 24 r 0
s_nop 1                                            // v_accvgpr read vgpr after write vgpr: 2 wait states
ds_bpermute_b32 v5, v0, v5, offset:8               // permute edge values
s_waitcnt 0                                        // wait for swizzle operation
v_accvgpr_write_b32 acc248, v5                     // 
v_accvgpr_read_b32 v5, acc249                      // glvw 6 mb 7 tt1 25 r 0
s_nop 1                                            // v_accvgpr read vgpr after write vgpr: 2 wait states
ds_bpermute_b32 v5, v0, v5, offset:8               // permute edge values
s_waitcnt 0                                        // wait for swizzle operation
v_accvgpr_write_b32 acc249, v5                     // 
v_accvgpr_read_b32 v5, acc250                      // glvw 6 mb 7 tt1 26 r 0
s_nop 1                                            // v_accvgpr read vgpr after write vgpr: 2 wait states
ds_bpermute_b32 v5, v0, v5, offset:8               // permute edge values
s_waitcnt 0                                        // wait for swizzle operation
v_accvgpr_write_b32 acc250, v5                     // 
v_accvgpr_read_b32 v5, acc251                      // glvw 6 mb 7 tt1 27 r 0
s_nop 1                                            // v_accvgpr read vgpr after write vgpr: 2 wait states
ds_bpermute_b32 v5, v0, v5, offset:8               // permute edge values
s_waitcnt 0                                        // wait for swizzle operation
v_accvgpr_write_b32 acc251, v5                     // 
v_accvgpr_read_b32 v5, acc252                      // glvw 6 mb 7 tt1 28 r 0
s_nop 1                                            // v_accvgpr read vgpr after write vgpr: 2 wait states
ds_bpermute_b32 v5, v0, v5, offset:8               // permute edge values
s_waitcnt 0                                        // wait for swizzle operation
v_accvgpr_write_b32 acc252, v5                     // 
v_accvgpr_read_b32 v5, acc253                      // glvw 6 mb 7 tt1 29 r 0
s_nop 1                                            // v_accvgpr read vgpr after write vgpr: 2 wait states
ds_bpermute_b32 v5, v0, v5, offset:8               // permute edge values
s_waitcnt 0                                        // wait for swizzle operation
v_accvgpr_write_b32 acc253, v5                     // 
v_accvgpr_read_b32 v5, acc254                      // glvw 6 mb 7 tt1 30 r 0
s_nop 1                                            // v_accvgpr read vgpr after write vgpr: 2 wait states
ds_bpermute_b32 v5, v0, v5, offset:8               // permute edge values
s_waitcnt 0                                        // wait for swizzle operation
v_accvgpr_write_b32 acc254, v5                     // 
v_accvgpr_read_b32 v5, acc255                      // glvw 6 mb 7 tt1 31 r 0
s_nop 1                                            // v_accvgpr read vgpr after write vgpr: 2 wait states
ds_bpermute_b32 v5, v0, v5, offset:8               // permute edge values
s_waitcnt 0                                        // wait for swizzle operation
v_accvgpr_write_b32 acc255, v5                     // 
s_mov_b64 s[32:33], 0xFFFFFFFFFFFFFFFF             // to restore all threads active
s_or_saveexec_b64 vcc, s[32:33]                    // all threads active
s_branch label_0148                                // done shifting


/******************************************/
/* shift d1 r=7 mb=0 vw0                  */
/******************************************/
label_0133: // r7 mb0 vw0 
s_mov_b32 s32, 0                                   // 
_v_cmpx_eq_u32 s[32:33], v4, s32                   // is thread in edge glvw region
v_and_b32 v0, 63, v[vgprSerial]                    // permute register between threads
v_lshlrev_b32 v0, 2, v0                            // permute register between threads
v_accvgpr_read_b32 v5, acc0                        // glvw 7 mb 0 tt1 0 r 0
s_nop 1                                            // v_accvgpr read vgpr after write vgpr: 2 wait states
ds_bpermute_b32 v5, v0, v5, offset:4               // permute edge values
s_waitcnt 0                                        // wait for swizzle operation
v_accvgpr_write_b32 acc0, v5                       // 
v_accvgpr_read_b32 v5, acc1                        // glvw 7 mb 0 tt1 1 r 0
s_nop 1                                            // v_accvgpr read vgpr after write vgpr: 2 wait states
ds_bpermute_b32 v5, v0, v5, offset:4               // permute edge values
s_waitcnt 0                                        // wait for swizzle operation
v_accvgpr_write_b32 acc1, v5                       // 
v_accvgpr_read_b32 v5, acc2                        // glvw 7 mb 0 tt1 2 r 0
s_nop 1                                            // v_accvgpr read vgpr after write vgpr: 2 wait states
ds_bpermute_b32 v5, v0, v5, offset:4               // permute edge values
s_waitcnt 0                                        // wait for swizzle operation
v_accvgpr_write_b32 acc2, v5                       // 
v_accvgpr_read_b32 v5, acc3                        // glvw 7 mb 0 tt1 3 r 0
s_nop 1                                            // v_accvgpr read vgpr after write vgpr: 2 wait states
ds_bpermute_b32 v5, v0, v5, offset:4               // permute edge values
s_waitcnt 0                                        // wait for swizzle operation
v_accvgpr_write_b32 acc3, v5                       // 
v_accvgpr_read_b32 v5, acc4                        // glvw 7 mb 0 tt1 4 r 0
s_nop 1                                            // v_accvgpr read vgpr after write vgpr: 2 wait states
ds_bpermute_b32 v5, v0, v5, offset:4               // permute edge values
s_waitcnt 0                                        // wait for swizzle operation
v_accvgpr_write_b32 acc4, v5                       // 
v_accvgpr_read_b32 v5, acc5                        // glvw 7 mb 0 tt1 5 r 0
s_nop 1                                            // v_accvgpr read vgpr after write vgpr: 2 wait states
ds_bpermute_b32 v5, v0, v5, offset:4               // permute edge values
s_waitcnt 0                                        // wait for swizzle operation
v_accvgpr_write_b32 acc5, v5                       // 
v_accvgpr_read_b32 v5, acc6                        // glvw 7 mb 0 tt1 6 r 0
s_nop 1                                            // v_accvgpr read vgpr after write vgpr: 2 wait states
ds_bpermute_b32 v5, v0, v5, offset:4               // permute edge values
s_waitcnt 0                                        // wait for swizzle operation
v_accvgpr_write_b32 acc6, v5                       // 
v_accvgpr_read_b32 v5, acc7                        // glvw 7 mb 0 tt1 7 r 0
s_nop 1                                            // v_accvgpr read vgpr after write vgpr: 2 wait states
ds_bpermute_b32 v5, v0, v5, offset:4               // permute edge values
s_waitcnt 0                                        // wait for swizzle operation
v_accvgpr_write_b32 acc7, v5                       // 
v_accvgpr_read_b32 v5, acc8                        // glvw 7 mb 0 tt1 8 r 0
s_nop 1                                            // v_accvgpr read vgpr after write vgpr: 2 wait states
ds_bpermute_b32 v5, v0, v5, offset:4               // permute edge values
s_waitcnt 0                                        // wait for swizzle operation
v_accvgpr_write_b32 acc8, v5                       // 
v_accvgpr_read_b32 v5, acc9                        // glvw 7 mb 0 tt1 9 r 0
s_nop 1                                            // v_accvgpr read vgpr after write vgpr: 2 wait states
ds_bpermute_b32 v5, v0, v5, offset:4               // permute edge values
s_waitcnt 0                                        // wait for swizzle operation
v_accvgpr_write_b32 acc9, v5                       // 
v_accvgpr_read_b32 v5, acc10                       // glvw 7 mb 0 tt1 10 r 0
s_nop 1                                            // v_accvgpr read vgpr after write vgpr: 2 wait states
ds_bpermute_b32 v5, v0, v5, offset:4               // permute edge values
s_waitcnt 0                                        // wait for swizzle operation
v_accvgpr_write_b32 acc10, v5                      // 
v_accvgpr_read_b32 v5, acc11                       // glvw 7 mb 0 tt1 11 r 0
s_nop 1                                            // v_accvgpr read vgpr after write vgpr: 2 wait states
ds_bpermute_b32 v5, v0, v5, offset:4               // permute edge values
s_waitcnt 0                                        // wait for swizzle operation
v_accvgpr_write_b32 acc11, v5                      // 
v_accvgpr_read_b32 v5, acc12                       // glvw 7 mb 0 tt1 12 r 0
s_nop 1                                            // v_accvgpr read vgpr after write vgpr: 2 wait states
ds_bpermute_b32 v5, v0, v5, offset:4               // permute edge values
s_waitcnt 0                                        // wait for swizzle operation
v_accvgpr_write_b32 acc12, v5                      // 
v_accvgpr_read_b32 v5, acc13                       // glvw 7 mb 0 tt1 13 r 0
s_nop 1                                            // v_accvgpr read vgpr after write vgpr: 2 wait states
ds_bpermute_b32 v5, v0, v5, offset:4               // permute edge values
s_waitcnt 0                                        // wait for swizzle operation
v_accvgpr_write_b32 acc13, v5                      // 
v_accvgpr_read_b32 v5, acc14                       // glvw 7 mb 0 tt1 14 r 0
s_nop 1                                            // v_accvgpr read vgpr after write vgpr: 2 wait states
ds_bpermute_b32 v5, v0, v5, offset:4               // permute edge values
s_waitcnt 0                                        // wait for swizzle operation
v_accvgpr_write_b32 acc14, v5                      // 
v_accvgpr_read_b32 v5, acc15                       // glvw 7 mb 0 tt1 15 r 0
s_nop 1                                            // v_accvgpr read vgpr after write vgpr: 2 wait states
ds_bpermute_b32 v5, v0, v5, offset:4               // permute edge values
s_waitcnt 0                                        // wait for swizzle operation
v_accvgpr_write_b32 acc15, v5                      // 
v_accvgpr_read_b32 v5, acc16                       // glvw 7 mb 0 tt1 16 r 0
s_nop 1                                            // v_accvgpr read vgpr after write vgpr: 2 wait states
ds_bpermute_b32 v5, v0, v5, offset:4               // permute edge values
s_waitcnt 0                                        // wait for swizzle operation
v_accvgpr_write_b32 acc16, v5                      // 
v_accvgpr_read_b32 v5, acc17                       // glvw 7 mb 0 tt1 17 r 0
s_nop 1                                            // v_accvgpr read vgpr after write vgpr: 2 wait states
ds_bpermute_b32 v5, v0, v5, offset:4               // permute edge values
s_waitcnt 0                                        // wait for swizzle operation
v_accvgpr_write_b32 acc17, v5                      // 
v_accvgpr_read_b32 v5, acc18                       // glvw 7 mb 0 tt1 18 r 0
s_nop 1                                            // v_accvgpr read vgpr after write vgpr: 2 wait states
ds_bpermute_b32 v5, v0, v5, offset:4               // permute edge values
s_waitcnt 0                                        // wait for swizzle operation
v_accvgpr_write_b32 acc18, v5                      // 
v_accvgpr_read_b32 v5, acc19                       // glvw 7 mb 0 tt1 19 r 0
s_nop 1                                            // v_accvgpr read vgpr after write vgpr: 2 wait states
ds_bpermute_b32 v5, v0, v5, offset:4               // permute edge values
s_waitcnt 0                                        // wait for swizzle operation
v_accvgpr_write_b32 acc19, v5                      // 
v_accvgpr_read_b32 v5, acc20                       // glvw 7 mb 0 tt1 20 r 0
s_nop 1                                            // v_accvgpr read vgpr after write vgpr: 2 wait states
ds_bpermute_b32 v5, v0, v5, offset:4               // permute edge values
s_waitcnt 0                                        // wait for swizzle operation
v_accvgpr_write_b32 acc20, v5                      // 
v_accvgpr_read_b32 v5, acc21                       // glvw 7 mb 0 tt1 21 r 0
s_nop 1                                            // v_accvgpr read vgpr after write vgpr: 2 wait states
ds_bpermute_b32 v5, v0, v5, offset:4               // permute edge values
s_waitcnt 0                                        // wait for swizzle operation
v_accvgpr_write_b32 acc21, v5                      // 
v_accvgpr_read_b32 v5, acc22                       // glvw 7 mb 0 tt1 22 r 0
s_nop 1                                            // v_accvgpr read vgpr after write vgpr: 2 wait states
ds_bpermute_b32 v5, v0, v5, offset:4               // permute edge values
s_waitcnt 0                                        // wait for swizzle operation
v_accvgpr_write_b32 acc22, v5                      // 
v_accvgpr_read_b32 v5, acc23                       // glvw 7 mb 0 tt1 23 r 0
s_nop 1                                            // v_accvgpr read vgpr after write vgpr: 2 wait states
ds_bpermute_b32 v5, v0, v5, offset:4               // permute edge values
s_waitcnt 0                                        // wait for swizzle operation
v_accvgpr_write_b32 acc23, v5                      // 
v_accvgpr_read_b32 v5, acc24                       // glvw 7 mb 0 tt1 24 r 0
s_nop 1                                            // v_accvgpr read vgpr after write vgpr: 2 wait states
ds_bpermute_b32 v5, v0, v5, offset:4               // permute edge values
s_waitcnt 0                                        // wait for swizzle operation
v_accvgpr_write_b32 acc24, v5                      // 
v_accvgpr_read_b32 v5, acc25                       // glvw 7 mb 0 tt1 25 r 0
s_nop 1                                            // v_accvgpr read vgpr after write vgpr: 2 wait states
ds_bpermute_b32 v5, v0, v5, offset:4               // permute edge values
s_waitcnt 0                                        // wait for swizzle operation
v_accvgpr_write_b32 acc25, v5                      // 
v_accvgpr_read_b32 v5, acc26                       // glvw 7 mb 0 tt1 26 r 0
s_nop 1                                            // v_accvgpr read vgpr after write vgpr: 2 wait states
ds_bpermute_b32 v5, v0, v5, offset:4               // permute edge values
s_waitcnt 0                                        // wait for swizzle operation
v_accvgpr_write_b32 acc26, v5                      // 
v_accvgpr_read_b32 v5, acc27                       // glvw 7 mb 0 tt1 27 r 0
s_nop 1                                            // v_accvgpr read vgpr after write vgpr: 2 wait states
ds_bpermute_b32 v5, v0, v5, offset:4               // permute edge values
s_waitcnt 0                                        // wait for swizzle operation
v_accvgpr_write_b32 acc27, v5                      // 
v_accvgpr_read_b32 v5, acc28                       // glvw 7 mb 0 tt1 28 r 0
s_nop 1                                            // v_accvgpr read vgpr after write vgpr: 2 wait states
ds_bpermute_b32 v5, v0, v5, offset:4               // permute edge values
s_waitcnt 0                                        // wait for swizzle operation
v_accvgpr_write_b32 acc28, v5                      // 
v_accvgpr_read_b32 v5, acc29                       // glvw 7 mb 0 tt1 29 r 0
s_nop 1                                            // v_accvgpr read vgpr after write vgpr: 2 wait states
ds_bpermute_b32 v5, v0, v5, offset:4               // permute edge values
s_waitcnt 0                                        // wait for swizzle operation
v_accvgpr_write_b32 acc29, v5                      // 
v_accvgpr_read_b32 v5, acc30                       // glvw 7 mb 0 tt1 30 r 0
s_nop 1                                            // v_accvgpr read vgpr after write vgpr: 2 wait states
ds_bpermute_b32 v5, v0, v5, offset:4               // permute edge values
s_waitcnt 0                                        // wait for swizzle operation
v_accvgpr_write_b32 acc30, v5                      // 
v_accvgpr_read_b32 v5, acc31                       // glvw 7 mb 0 tt1 31 r 0
s_nop 1                                            // v_accvgpr read vgpr after write vgpr: 2 wait states
ds_bpermute_b32 v5, v0, v5, offset:4               // permute edge values
s_waitcnt 0                                        // wait for swizzle operation
v_accvgpr_write_b32 acc31, v5                      // 
s_mov_b64 s[32:33], 0xFFFFFFFFFFFFFFFF             // to restore all threads active
s_or_saveexec_b64 vcc, s[32:33]                    // all threads active
s_branch label_0148                                // done shifting


/******************************************/
/* shift d1 r=7 mb=1 vw0                  */
/******************************************/
label_0135: // r7 mb1 vw0 
s_mov_b32 s32, 4                                   // 
_v_cmpx_eq_u32 s[32:33], v4, s32                   // is thread in edge glvw region
v_and_b32 v0, 63, v[vgprSerial]                    // permute register between threads
v_lshlrev_b32 v0, 2, v0                            // permute register between threads
v_accvgpr_read_b32 v5, acc32                       // glvw 7 mb 1 tt1 0 r 0
s_nop 1                                            // v_accvgpr read vgpr after write vgpr: 2 wait states
ds_bpermute_b32 v5, v0, v5, offset:4               // permute edge values
s_waitcnt 0                                        // wait for swizzle operation
v_accvgpr_write_b32 acc32, v5                      // 
v_accvgpr_read_b32 v5, acc33                       // glvw 7 mb 1 tt1 1 r 0
s_nop 1                                            // v_accvgpr read vgpr after write vgpr: 2 wait states
ds_bpermute_b32 v5, v0, v5, offset:4               // permute edge values
s_waitcnt 0                                        // wait for swizzle operation
v_accvgpr_write_b32 acc33, v5                      // 
v_accvgpr_read_b32 v5, acc34                       // glvw 7 mb 1 tt1 2 r 0
s_nop 1                                            // v_accvgpr read vgpr after write vgpr: 2 wait states
ds_bpermute_b32 v5, v0, v5, offset:4               // permute edge values
s_waitcnt 0                                        // wait for swizzle operation
v_accvgpr_write_b32 acc34, v5                      // 
v_accvgpr_read_b32 v5, acc35                       // glvw 7 mb 1 tt1 3 r 0
s_nop 1                                            // v_accvgpr read vgpr after write vgpr: 2 wait states
ds_bpermute_b32 v5, v0, v5, offset:4               // permute edge values
s_waitcnt 0                                        // wait for swizzle operation
v_accvgpr_write_b32 acc35, v5                      // 
v_accvgpr_read_b32 v5, acc36                       // glvw 7 mb 1 tt1 4 r 0
s_nop 1                                            // v_accvgpr read vgpr after write vgpr: 2 wait states
ds_bpermute_b32 v5, v0, v5, offset:4               // permute edge values
s_waitcnt 0                                        // wait for swizzle operation
v_accvgpr_write_b32 acc36, v5                      // 
v_accvgpr_read_b32 v5, acc37                       // glvw 7 mb 1 tt1 5 r 0
s_nop 1                                            // v_accvgpr read vgpr after write vgpr: 2 wait states
ds_bpermute_b32 v5, v0, v5, offset:4               // permute edge values
s_waitcnt 0                                        // wait for swizzle operation
v_accvgpr_write_b32 acc37, v5                      // 
v_accvgpr_read_b32 v5, acc38                       // glvw 7 mb 1 tt1 6 r 0
s_nop 1                                            // v_accvgpr read vgpr after write vgpr: 2 wait states
ds_bpermute_b32 v5, v0, v5, offset:4               // permute edge values
s_waitcnt 0                                        // wait for swizzle operation
v_accvgpr_write_b32 acc38, v5                      // 
v_accvgpr_read_b32 v5, acc39                       // glvw 7 mb 1 tt1 7 r 0
s_nop 1                                            // v_accvgpr read vgpr after write vgpr: 2 wait states
ds_bpermute_b32 v5, v0, v5, offset:4               // permute edge values
s_waitcnt 0                                        // wait for swizzle operation
v_accvgpr_write_b32 acc39, v5                      // 
v_accvgpr_read_b32 v5, acc40                       // glvw 7 mb 1 tt1 8 r 0
s_nop 1                                            // v_accvgpr read vgpr after write vgpr: 2 wait states
ds_bpermute_b32 v5, v0, v5, offset:4               // permute edge values
s_waitcnt 0                                        // wait for swizzle operation
v_accvgpr_write_b32 acc40, v5                      // 
v_accvgpr_read_b32 v5, acc41                       // glvw 7 mb 1 tt1 9 r 0
s_nop 1                                            // v_accvgpr read vgpr after write vgpr: 2 wait states
ds_bpermute_b32 v5, v0, v5, offset:4               // permute edge values
s_waitcnt 0                                        // wait for swizzle operation
v_accvgpr_write_b32 acc41, v5                      // 
v_accvgpr_read_b32 v5, acc42                       // glvw 7 mb 1 tt1 10 r 0
s_nop 1                                            // v_accvgpr read vgpr after write vgpr: 2 wait states
ds_bpermute_b32 v5, v0, v5, offset:4               // permute edge values
s_waitcnt 0                                        // wait for swizzle operation
v_accvgpr_write_b32 acc42, v5                      // 
v_accvgpr_read_b32 v5, acc43                       // glvw 7 mb 1 tt1 11 r 0
s_nop 1                                            // v_accvgpr read vgpr after write vgpr: 2 wait states
ds_bpermute_b32 v5, v0, v5, offset:4               // permute edge values
s_waitcnt 0                                        // wait for swizzle operation
v_accvgpr_write_b32 acc43, v5                      // 
v_accvgpr_read_b32 v5, acc44                       // glvw 7 mb 1 tt1 12 r 0
s_nop 1                                            // v_accvgpr read vgpr after write vgpr: 2 wait states
ds_bpermute_b32 v5, v0, v5, offset:4               // permute edge values
s_waitcnt 0                                        // wait for swizzle operation
v_accvgpr_write_b32 acc44, v5                      // 
v_accvgpr_read_b32 v5, acc45                       // glvw 7 mb 1 tt1 13 r 0
s_nop 1                                            // v_accvgpr read vgpr after write vgpr: 2 wait states
ds_bpermute_b32 v5, v0, v5, offset:4               // permute edge values
s_waitcnt 0                                        // wait for swizzle operation
v_accvgpr_write_b32 acc45, v5                      // 
v_accvgpr_read_b32 v5, acc46                       // glvw 7 mb 1 tt1 14 r 0
s_nop 1                                            // v_accvgpr read vgpr after write vgpr: 2 wait states
ds_bpermute_b32 v5, v0, v5, offset:4               // permute edge values
s_waitcnt 0                                        // wait for swizzle operation
v_accvgpr_write_b32 acc46, v5                      // 
v_accvgpr_read_b32 v5, acc47                       // glvw 7 mb 1 tt1 15 r 0
s_nop 1                                            // v_accvgpr read vgpr after write vgpr: 2 wait states
ds_bpermute_b32 v5, v0, v5, offset:4               // permute edge values
s_waitcnt 0                                        // wait for swizzle operation
v_accvgpr_write_b32 acc47, v5                      // 
v_accvgpr_read_b32 v5, acc48                       // glvw 7 mb 1 tt1 16 r 0
s_nop 1                                            // v_accvgpr read vgpr after write vgpr: 2 wait states
ds_bpermute_b32 v5, v0, v5, offset:4               // permute edge values
s_waitcnt 0                                        // wait for swizzle operation
v_accvgpr_write_b32 acc48, v5                      // 
v_accvgpr_read_b32 v5, acc49                       // glvw 7 mb 1 tt1 17 r 0
s_nop 1                                            // v_accvgpr read vgpr after write vgpr: 2 wait states
ds_bpermute_b32 v5, v0, v5, offset:4               // permute edge values
s_waitcnt 0                                        // wait for swizzle operation
v_accvgpr_write_b32 acc49, v5                      // 
v_accvgpr_read_b32 v5, acc50                       // glvw 7 mb 1 tt1 18 r 0
s_nop 1                                            // v_accvgpr read vgpr after write vgpr: 2 wait states
ds_bpermute_b32 v5, v0, v5, offset:4               // permute edge values
s_waitcnt 0                                        // wait for swizzle operation
v_accvgpr_write_b32 acc50, v5                      // 
v_accvgpr_read_b32 v5, acc51                       // glvw 7 mb 1 tt1 19 r 0
s_nop 1                                            // v_accvgpr read vgpr after write vgpr: 2 wait states
ds_bpermute_b32 v5, v0, v5, offset:4               // permute edge values
s_waitcnt 0                                        // wait for swizzle operation
v_accvgpr_write_b32 acc51, v5                      // 
v_accvgpr_read_b32 v5, acc52                       // glvw 7 mb 1 tt1 20 r 0
s_nop 1                                            // v_accvgpr read vgpr after write vgpr: 2 wait states
ds_bpermute_b32 v5, v0, v5, offset:4               // permute edge values
s_waitcnt 0                                        // wait for swizzle operation
v_accvgpr_write_b32 acc52, v5                      // 
v_accvgpr_read_b32 v5, acc53                       // glvw 7 mb 1 tt1 21 r 0
s_nop 1                                            // v_accvgpr read vgpr after write vgpr: 2 wait states
ds_bpermute_b32 v5, v0, v5, offset:4               // permute edge values
s_waitcnt 0                                        // wait for swizzle operation
v_accvgpr_write_b32 acc53, v5                      // 
v_accvgpr_read_b32 v5, acc54                       // glvw 7 mb 1 tt1 22 r 0
s_nop 1                                            // v_accvgpr read vgpr after write vgpr: 2 wait states
ds_bpermute_b32 v5, v0, v5, offset:4               // permute edge values
s_waitcnt 0                                        // wait for swizzle operation
v_accvgpr_write_b32 acc54, v5                      // 
v_accvgpr_read_b32 v5, acc55                       // glvw 7 mb 1 tt1 23 r 0
s_nop 1                                            // v_accvgpr read vgpr after write vgpr: 2 wait states
ds_bpermute_b32 v5, v0, v5, offset:4               // permute edge values
s_waitcnt 0                                        // wait for swizzle operation
v_accvgpr_write_b32 acc55, v5                      // 
v_accvgpr_read_b32 v5, acc56                       // glvw 7 mb 1 tt1 24 r 0
s_nop 1                                            // v_accvgpr read vgpr after write vgpr: 2 wait states
ds_bpermute_b32 v5, v0, v5, offset:4               // permute edge values
s_waitcnt 0                                        // wait for swizzle operation
v_accvgpr_write_b32 acc56, v5                      // 
v_accvgpr_read_b32 v5, acc57                       // glvw 7 mb 1 tt1 25 r 0
s_nop 1                                            // v_accvgpr read vgpr after write vgpr: 2 wait states
ds_bpermute_b32 v5, v0, v5, offset:4               // permute edge values
s_waitcnt 0                                        // wait for swizzle operation
v_accvgpr_write_b32 acc57, v5                      // 
v_accvgpr_read_b32 v5, acc58                       // glvw 7 mb 1 tt1 26 r 0
s_nop 1                                            // v_accvgpr read vgpr after write vgpr: 2 wait states
ds_bpermute_b32 v5, v0, v5, offset:4               // permute edge values
s_waitcnt 0                                        // wait for swizzle operation
v_accvgpr_write_b32 acc58, v5                      // 
v_accvgpr_read_b32 v5, acc59                       // glvw 7 mb 1 tt1 27 r 0
s_nop 1                                            // v_accvgpr read vgpr after write vgpr: 2 wait states
ds_bpermute_b32 v5, v0, v5, offset:4               // permute edge values
s_waitcnt 0                                        // wait for swizzle operation
v_accvgpr_write_b32 acc59, v5                      // 
v_accvgpr_read_b32 v5, acc60                       // glvw 7 mb 1 tt1 28 r 0
s_nop 1                                            // v_accvgpr read vgpr after write vgpr: 2 wait states
ds_bpermute_b32 v5, v0, v5, offset:4               // permute edge values
s_waitcnt 0                                        // wait for swizzle operation
v_accvgpr_write_b32 acc60, v5                      // 
v_accvgpr_read_b32 v5, acc61                       // glvw 7 mb 1 tt1 29 r 0
s_nop 1                                            // v_accvgpr read vgpr after write vgpr: 2 wait states
ds_bpermute_b32 v5, v0, v5, offset:4               // permute edge values
s_waitcnt 0                                        // wait for swizzle operation
v_accvgpr_write_b32 acc61, v5                      // 
v_accvgpr_read_b32 v5, acc62                       // glvw 7 mb 1 tt1 30 r 0
s_nop 1                                            // v_accvgpr read vgpr after write vgpr: 2 wait states
ds_bpermute_b32 v5, v0, v5, offset:4               // permute edge values
s_waitcnt 0                                        // wait for swizzle operation
v_accvgpr_write_b32 acc62, v5                      // 
v_accvgpr_read_b32 v5, acc63                       // glvw 7 mb 1 tt1 31 r 0
s_nop 1                                            // v_accvgpr read vgpr after write vgpr: 2 wait states
ds_bpermute_b32 v5, v0, v5, offset:4               // permute edge values
s_waitcnt 0                                        // wait for swizzle operation
v_accvgpr_write_b32 acc63, v5                      // 
s_mov_b64 s[32:33], 0xFFFFFFFFFFFFFFFF             // to restore all threads active
s_or_saveexec_b64 vcc, s[32:33]                    // all threads active
s_branch label_0148                                // done shifting


/******************************************/
/* shift d1 r=7 mb=2 vw0                  */
/******************************************/
label_0137: // r7 mb2 vw0 
s_mov_b32 s32, 8                                   // 
_v_cmpx_eq_u32 s[32:33], v4, s32                   // is thread in edge glvw region
v_and_b32 v0, 63, v[vgprSerial]                    // permute register between threads
v_lshlrev_b32 v0, 2, v0                            // permute register between threads
v_accvgpr_read_b32 v5, acc64                       // glvw 7 mb 2 tt1 0 r 0
s_nop 1                                            // v_accvgpr read vgpr after write vgpr: 2 wait states
ds_bpermute_b32 v5, v0, v5, offset:4               // permute edge values
s_waitcnt 0                                        // wait for swizzle operation
v_accvgpr_write_b32 acc64, v5                      // 
v_accvgpr_read_b32 v5, acc65                       // glvw 7 mb 2 tt1 1 r 0
s_nop 1                                            // v_accvgpr read vgpr after write vgpr: 2 wait states
ds_bpermute_b32 v5, v0, v5, offset:4               // permute edge values
s_waitcnt 0                                        // wait for swizzle operation
v_accvgpr_write_b32 acc65, v5                      // 
v_accvgpr_read_b32 v5, acc66                       // glvw 7 mb 2 tt1 2 r 0
s_nop 1                                            // v_accvgpr read vgpr after write vgpr: 2 wait states
ds_bpermute_b32 v5, v0, v5, offset:4               // permute edge values
s_waitcnt 0                                        // wait for swizzle operation
v_accvgpr_write_b32 acc66, v5                      // 
v_accvgpr_read_b32 v5, acc67                       // glvw 7 mb 2 tt1 3 r 0
s_nop 1                                            // v_accvgpr read vgpr after write vgpr: 2 wait states
ds_bpermute_b32 v5, v0, v5, offset:4               // permute edge values
s_waitcnt 0                                        // wait for swizzle operation
v_accvgpr_write_b32 acc67, v5                      // 
v_accvgpr_read_b32 v5, acc68                       // glvw 7 mb 2 tt1 4 r 0
s_nop 1                                            // v_accvgpr read vgpr after write vgpr: 2 wait states
ds_bpermute_b32 v5, v0, v5, offset:4               // permute edge values
s_waitcnt 0                                        // wait for swizzle operation
v_accvgpr_write_b32 acc68, v5                      // 
v_accvgpr_read_b32 v5, acc69                       // glvw 7 mb 2 tt1 5 r 0
s_nop 1                                            // v_accvgpr read vgpr after write vgpr: 2 wait states
ds_bpermute_b32 v5, v0, v5, offset:4               // permute edge values
s_waitcnt 0                                        // wait for swizzle operation
v_accvgpr_write_b32 acc69, v5                      // 
v_accvgpr_read_b32 v5, acc70                       // glvw 7 mb 2 tt1 6 r 0
s_nop 1                                            // v_accvgpr read vgpr after write vgpr: 2 wait states
ds_bpermute_b32 v5, v0, v5, offset:4               // permute edge values
s_waitcnt 0                                        // wait for swizzle operation
v_accvgpr_write_b32 acc70, v5                      // 
v_accvgpr_read_b32 v5, acc71                       // glvw 7 mb 2 tt1 7 r 0
s_nop 1                                            // v_accvgpr read vgpr after write vgpr: 2 wait states
ds_bpermute_b32 v5, v0, v5, offset:4               // permute edge values
s_waitcnt 0                                        // wait for swizzle operation
v_accvgpr_write_b32 acc71, v5                      // 
v_accvgpr_read_b32 v5, acc72                       // glvw 7 mb 2 tt1 8 r 0
s_nop 1                                            // v_accvgpr read vgpr after write vgpr: 2 wait states
ds_bpermute_b32 v5, v0, v5, offset:4               // permute edge values
s_waitcnt 0                                        // wait for swizzle operation
v_accvgpr_write_b32 acc72, v5                      // 
v_accvgpr_read_b32 v5, acc73                       // glvw 7 mb 2 tt1 9 r 0
s_nop 1                                            // v_accvgpr read vgpr after write vgpr: 2 wait states
ds_bpermute_b32 v5, v0, v5, offset:4               // permute edge values
s_waitcnt 0                                        // wait for swizzle operation
v_accvgpr_write_b32 acc73, v5                      // 
v_accvgpr_read_b32 v5, acc74                       // glvw 7 mb 2 tt1 10 r 0
s_nop 1                                            // v_accvgpr read vgpr after write vgpr: 2 wait states
ds_bpermute_b32 v5, v0, v5, offset:4               // permute edge values
s_waitcnt 0                                        // wait for swizzle operation
v_accvgpr_write_b32 acc74, v5                      // 
v_accvgpr_read_b32 v5, acc75                       // glvw 7 mb 2 tt1 11 r 0
s_nop 1                                            // v_accvgpr read vgpr after write vgpr: 2 wait states
ds_bpermute_b32 v5, v0, v5, offset:4               // permute edge values
s_waitcnt 0                                        // wait for swizzle operation
v_accvgpr_write_b32 acc75, v5                      // 
v_accvgpr_read_b32 v5, acc76                       // glvw 7 mb 2 tt1 12 r 0
s_nop 1                                            // v_accvgpr read vgpr after write vgpr: 2 wait states
ds_bpermute_b32 v5, v0, v5, offset:4               // permute edge values
s_waitcnt 0                                        // wait for swizzle operation
v_accvgpr_write_b32 acc76, v5                      // 
v_accvgpr_read_b32 v5, acc77                       // glvw 7 mb 2 tt1 13 r 0
s_nop 1                                            // v_accvgpr read vgpr after write vgpr: 2 wait states
ds_bpermute_b32 v5, v0, v5, offset:4               // permute edge values
s_waitcnt 0                                        // wait for swizzle operation
v_accvgpr_write_b32 acc77, v5                      // 
v_accvgpr_read_b32 v5, acc78                       // glvw 7 mb 2 tt1 14 r 0
s_nop 1                                            // v_accvgpr read vgpr after write vgpr: 2 wait states
ds_bpermute_b32 v5, v0, v5, offset:4               // permute edge values
s_waitcnt 0                                        // wait for swizzle operation
v_accvgpr_write_b32 acc78, v5                      // 
v_accvgpr_read_b32 v5, acc79                       // glvw 7 mb 2 tt1 15 r 0
s_nop 1                                            // v_accvgpr read vgpr after write vgpr: 2 wait states
ds_bpermute_b32 v5, v0, v5, offset:4               // permute edge values
s_waitcnt 0                                        // wait for swizzle operation
v_accvgpr_write_b32 acc79, v5                      // 
v_accvgpr_read_b32 v5, acc80                       // glvw 7 mb 2 tt1 16 r 0
s_nop 1                                            // v_accvgpr read vgpr after write vgpr: 2 wait states
ds_bpermute_b32 v5, v0, v5, offset:4               // permute edge values
s_waitcnt 0                                        // wait for swizzle operation
v_accvgpr_write_b32 acc80, v5                      // 
v_accvgpr_read_b32 v5, acc81                       // glvw 7 mb 2 tt1 17 r 0
s_nop 1                                            // v_accvgpr read vgpr after write vgpr: 2 wait states
ds_bpermute_b32 v5, v0, v5, offset:4               // permute edge values
s_waitcnt 0                                        // wait for swizzle operation
v_accvgpr_write_b32 acc81, v5                      // 
v_accvgpr_read_b32 v5, acc82                       // glvw 7 mb 2 tt1 18 r 0
s_nop 1                                            // v_accvgpr read vgpr after write vgpr: 2 wait states
ds_bpermute_b32 v5, v0, v5, offset:4               // permute edge values
s_waitcnt 0                                        // wait for swizzle operation
v_accvgpr_write_b32 acc82, v5                      // 
v_accvgpr_read_b32 v5, acc83                       // glvw 7 mb 2 tt1 19 r 0
s_nop 1                                            // v_accvgpr read vgpr after write vgpr: 2 wait states
ds_bpermute_b32 v5, v0, v5, offset:4               // permute edge values
s_waitcnt 0                                        // wait for swizzle operation
v_accvgpr_write_b32 acc83, v5                      // 
v_accvgpr_read_b32 v5, acc84                       // glvw 7 mb 2 tt1 20 r 0
s_nop 1                                            // v_accvgpr read vgpr after write vgpr: 2 wait states
ds_bpermute_b32 v5, v0, v5, offset:4               // permute edge values
s_waitcnt 0                                        // wait for swizzle operation
v_accvgpr_write_b32 acc84, v5                      // 
v_accvgpr_read_b32 v5, acc85                       // glvw 7 mb 2 tt1 21 r 0
s_nop 1                                            // v_accvgpr read vgpr after write vgpr: 2 wait states
ds_bpermute_b32 v5, v0, v5, offset:4               // permute edge values
s_waitcnt 0                                        // wait for swizzle operation
v_accvgpr_write_b32 acc85, v5                      // 
v_accvgpr_read_b32 v5, acc86                       // glvw 7 mb 2 tt1 22 r 0
s_nop 1                                            // v_accvgpr read vgpr after write vgpr: 2 wait states
ds_bpermute_b32 v5, v0, v5, offset:4               // permute edge values
s_waitcnt 0                                        // wait for swizzle operation
v_accvgpr_write_b32 acc86, v5                      // 
v_accvgpr_read_b32 v5, acc87                       // glvw 7 mb 2 tt1 23 r 0
s_nop 1                                            // v_accvgpr read vgpr after write vgpr: 2 wait states
ds_bpermute_b32 v5, v0, v5, offset:4               // permute edge values
s_waitcnt 0                                        // wait for swizzle operation
v_accvgpr_write_b32 acc87, v5                      // 
v_accvgpr_read_b32 v5, acc88                       // glvw 7 mb 2 tt1 24 r 0
s_nop 1                                            // v_accvgpr read vgpr after write vgpr: 2 wait states
ds_bpermute_b32 v5, v0, v5, offset:4               // permute edge values
s_waitcnt 0                                        // wait for swizzle operation
v_accvgpr_write_b32 acc88, v5                      // 
v_accvgpr_read_b32 v5, acc89                       // glvw 7 mb 2 tt1 25 r 0
s_nop 1                                            // v_accvgpr read vgpr after write vgpr: 2 wait states
ds_bpermute_b32 v5, v0, v5, offset:4               // permute edge values
s_waitcnt 0                                        // wait for swizzle operation
v_accvgpr_write_b32 acc89, v5                      // 
v_accvgpr_read_b32 v5, acc90                       // glvw 7 mb 2 tt1 26 r 0
s_nop 1                                            // v_accvgpr read vgpr after write vgpr: 2 wait states
ds_bpermute_b32 v5, v0, v5, offset:4               // permute edge values
s_waitcnt 0                                        // wait for swizzle operation
v_accvgpr_write_b32 acc90, v5                      // 
v_accvgpr_read_b32 v5, acc91                       // glvw 7 mb 2 tt1 27 r 0
s_nop 1                                            // v_accvgpr read vgpr after write vgpr: 2 wait states
ds_bpermute_b32 v5, v0, v5, offset:4               // permute edge values
s_waitcnt 0                                        // wait for swizzle operation
v_accvgpr_write_b32 acc91, v5                      // 
v_accvgpr_read_b32 v5, acc92                       // glvw 7 mb 2 tt1 28 r 0
s_nop 1                                            // v_accvgpr read vgpr after write vgpr: 2 wait states
ds_bpermute_b32 v5, v0, v5, offset:4               // permute edge values
s_waitcnt 0                                        // wait for swizzle operation
v_accvgpr_write_b32 acc92, v5                      // 
v_accvgpr_read_b32 v5, acc93                       // glvw 7 mb 2 tt1 29 r 0
s_nop 1                                            // v_accvgpr read vgpr after write vgpr: 2 wait states
ds_bpermute_b32 v5, v0, v5, offset:4               // permute edge values
s_waitcnt 0                                        // wait for swizzle operation
v_accvgpr_write_b32 acc93, v5                      // 
v_accvgpr_read_b32 v5, acc94                       // glvw 7 mb 2 tt1 30 r 0
s_nop 1                                            // v_accvgpr read vgpr after write vgpr: 2 wait states
ds_bpermute_b32 v5, v0, v5, offset:4               // permute edge values
s_waitcnt 0                                        // wait for swizzle operation
v_accvgpr_write_b32 acc94, v5                      // 
v_accvgpr_read_b32 v5, acc95                       // glvw 7 mb 2 tt1 31 r 0
s_nop 1                                            // v_accvgpr read vgpr after write vgpr: 2 wait states
ds_bpermute_b32 v5, v0, v5, offset:4               // permute edge values
s_waitcnt 0                                        // wait for swizzle operation
v_accvgpr_write_b32 acc95, v5                      // 
s_mov_b64 s[32:33], 0xFFFFFFFFFFFFFFFF             // to restore all threads active
s_or_saveexec_b64 vcc, s[32:33]                    // all threads active
s_branch label_0148                                // done shifting


/******************************************/
/* shift d1 r=7 mb=3 vw0                  */
/******************************************/
label_0139: // r7 mb3 vw0 
s_mov_b32 s32, 12                                  // 
_v_cmpx_eq_u32 s[32:33], v4, s32                   // is thread in edge glvw region
v_and_b32 v0, 63, v[vgprSerial]                    // permute register between threads
v_lshlrev_b32 v0, 2, v0                            // permute register between threads
v_accvgpr_read_b32 v5, acc96                       // glvw 7 mb 3 tt1 0 r 0
s_nop 1                                            // v_accvgpr read vgpr after write vgpr: 2 wait states
ds_bpermute_b32 v5, v0, v5, offset:4               // permute edge values
s_waitcnt 0                                        // wait for swizzle operation
v_accvgpr_write_b32 acc96, v5                      // 
v_accvgpr_read_b32 v5, acc97                       // glvw 7 mb 3 tt1 1 r 0
s_nop 1                                            // v_accvgpr read vgpr after write vgpr: 2 wait states
ds_bpermute_b32 v5, v0, v5, offset:4               // permute edge values
s_waitcnt 0                                        // wait for swizzle operation
v_accvgpr_write_b32 acc97, v5                      // 
v_accvgpr_read_b32 v5, acc98                       // glvw 7 mb 3 tt1 2 r 0
s_nop 1                                            // v_accvgpr read vgpr after write vgpr: 2 wait states
ds_bpermute_b32 v5, v0, v5, offset:4               // permute edge values
s_waitcnt 0                                        // wait for swizzle operation
v_accvgpr_write_b32 acc98, v5                      // 
v_accvgpr_read_b32 v5, acc99                       // glvw 7 mb 3 tt1 3 r 0
s_nop 1                                            // v_accvgpr read vgpr after write vgpr: 2 wait states
ds_bpermute_b32 v5, v0, v5, offset:4               // permute edge values
s_waitcnt 0                                        // wait for swizzle operation
v_accvgpr_write_b32 acc99, v5                      // 
v_accvgpr_read_b32 v5, acc100                      // glvw 7 mb 3 tt1 4 r 0
s_nop 1                                            // v_accvgpr read vgpr after write vgpr: 2 wait states
ds_bpermute_b32 v5, v0, v5, offset:4               // permute edge values
s_waitcnt 0                                        // wait for swizzle operation
v_accvgpr_write_b32 acc100, v5                     // 
v_accvgpr_read_b32 v5, acc101                      // glvw 7 mb 3 tt1 5 r 0
s_nop 1                                            // v_accvgpr read vgpr after write vgpr: 2 wait states
ds_bpermute_b32 v5, v0, v5, offset:4               // permute edge values
s_waitcnt 0                                        // wait for swizzle operation
v_accvgpr_write_b32 acc101, v5                     // 
v_accvgpr_read_b32 v5, acc102                      // glvw 7 mb 3 tt1 6 r 0
s_nop 1                                            // v_accvgpr read vgpr after write vgpr: 2 wait states
ds_bpermute_b32 v5, v0, v5, offset:4               // permute edge values
s_waitcnt 0                                        // wait for swizzle operation
v_accvgpr_write_b32 acc102, v5                     // 
v_accvgpr_read_b32 v5, acc103                      // glvw 7 mb 3 tt1 7 r 0
s_nop 1                                            // v_accvgpr read vgpr after write vgpr: 2 wait states
ds_bpermute_b32 v5, v0, v5, offset:4               // permute edge values
s_waitcnt 0                                        // wait for swizzle operation
v_accvgpr_write_b32 acc103, v5                     // 
v_accvgpr_read_b32 v5, acc104                      // glvw 7 mb 3 tt1 8 r 0
s_nop 1                                            // v_accvgpr read vgpr after write vgpr: 2 wait states
ds_bpermute_b32 v5, v0, v5, offset:4               // permute edge values
s_waitcnt 0                                        // wait for swizzle operation
v_accvgpr_write_b32 acc104, v5                     // 
v_accvgpr_read_b32 v5, acc105                      // glvw 7 mb 3 tt1 9 r 0
s_nop 1                                            // v_accvgpr read vgpr after write vgpr: 2 wait states
ds_bpermute_b32 v5, v0, v5, offset:4               // permute edge values
s_waitcnt 0                                        // wait for swizzle operation
v_accvgpr_write_b32 acc105, v5                     // 
v_accvgpr_read_b32 v5, acc106                      // glvw 7 mb 3 tt1 10 r 0
s_nop 1                                            // v_accvgpr read vgpr after write vgpr: 2 wait states
ds_bpermute_b32 v5, v0, v5, offset:4               // permute edge values
s_waitcnt 0                                        // wait for swizzle operation
v_accvgpr_write_b32 acc106, v5                     // 
v_accvgpr_read_b32 v5, acc107                      // glvw 7 mb 3 tt1 11 r 0
s_nop 1                                            // v_accvgpr read vgpr after write vgpr: 2 wait states
ds_bpermute_b32 v5, v0, v5, offset:4               // permute edge values
s_waitcnt 0                                        // wait for swizzle operation
v_accvgpr_write_b32 acc107, v5                     // 
v_accvgpr_read_b32 v5, acc108                      // glvw 7 mb 3 tt1 12 r 0
s_nop 1                                            // v_accvgpr read vgpr after write vgpr: 2 wait states
ds_bpermute_b32 v5, v0, v5, offset:4               // permute edge values
s_waitcnt 0                                        // wait for swizzle operation
v_accvgpr_write_b32 acc108, v5                     // 
v_accvgpr_read_b32 v5, acc109                      // glvw 7 mb 3 tt1 13 r 0
s_nop 1                                            // v_accvgpr read vgpr after write vgpr: 2 wait states
ds_bpermute_b32 v5, v0, v5, offset:4               // permute edge values
s_waitcnt 0                                        // wait for swizzle operation
v_accvgpr_write_b32 acc109, v5                     // 
v_accvgpr_read_b32 v5, acc110                      // glvw 7 mb 3 tt1 14 r 0
s_nop 1                                            // v_accvgpr read vgpr after write vgpr: 2 wait states
ds_bpermute_b32 v5, v0, v5, offset:4               // permute edge values
s_waitcnt 0                                        // wait for swizzle operation
v_accvgpr_write_b32 acc110, v5                     // 
v_accvgpr_read_b32 v5, acc111                      // glvw 7 mb 3 tt1 15 r 0
s_nop 1                                            // v_accvgpr read vgpr after write vgpr: 2 wait states
ds_bpermute_b32 v5, v0, v5, offset:4               // permute edge values
s_waitcnt 0                                        // wait for swizzle operation
v_accvgpr_write_b32 acc111, v5                     // 
v_accvgpr_read_b32 v5, acc112                      // glvw 7 mb 3 tt1 16 r 0
s_nop 1                                            // v_accvgpr read vgpr after write vgpr: 2 wait states
ds_bpermute_b32 v5, v0, v5, offset:4               // permute edge values
s_waitcnt 0                                        // wait for swizzle operation
v_accvgpr_write_b32 acc112, v5                     // 
v_accvgpr_read_b32 v5, acc113                      // glvw 7 mb 3 tt1 17 r 0
s_nop 1                                            // v_accvgpr read vgpr after write vgpr: 2 wait states
ds_bpermute_b32 v5, v0, v5, offset:4               // permute edge values
s_waitcnt 0                                        // wait for swizzle operation
v_accvgpr_write_b32 acc113, v5                     // 
v_accvgpr_read_b32 v5, acc114                      // glvw 7 mb 3 tt1 18 r 0
s_nop 1                                            // v_accvgpr read vgpr after write vgpr: 2 wait states
ds_bpermute_b32 v5, v0, v5, offset:4               // permute edge values
s_waitcnt 0                                        // wait for swizzle operation
v_accvgpr_write_b32 acc114, v5                     // 
v_accvgpr_read_b32 v5, acc115                      // glvw 7 mb 3 tt1 19 r 0
s_nop 1                                            // v_accvgpr read vgpr after write vgpr: 2 wait states
ds_bpermute_b32 v5, v0, v5, offset:4               // permute edge values
s_waitcnt 0                                        // wait for swizzle operation
v_accvgpr_write_b32 acc115, v5                     // 
v_accvgpr_read_b32 v5, acc116                      // glvw 7 mb 3 tt1 20 r 0
s_nop 1                                            // v_accvgpr read vgpr after write vgpr: 2 wait states
ds_bpermute_b32 v5, v0, v5, offset:4               // permute edge values
s_waitcnt 0                                        // wait for swizzle operation
v_accvgpr_write_b32 acc116, v5                     // 
v_accvgpr_read_b32 v5, acc117                      // glvw 7 mb 3 tt1 21 r 0
s_nop 1                                            // v_accvgpr read vgpr after write vgpr: 2 wait states
ds_bpermute_b32 v5, v0, v5, offset:4               // permute edge values
s_waitcnt 0                                        // wait for swizzle operation
v_accvgpr_write_b32 acc117, v5                     // 
v_accvgpr_read_b32 v5, acc118                      // glvw 7 mb 3 tt1 22 r 0
s_nop 1                                            // v_accvgpr read vgpr after write vgpr: 2 wait states
ds_bpermute_b32 v5, v0, v5, offset:4               // permute edge values
s_waitcnt 0                                        // wait for swizzle operation
v_accvgpr_write_b32 acc118, v5                     // 
v_accvgpr_read_b32 v5, acc119                      // glvw 7 mb 3 tt1 23 r 0
s_nop 1                                            // v_accvgpr read vgpr after write vgpr: 2 wait states
ds_bpermute_b32 v5, v0, v5, offset:4               // permute edge values
s_waitcnt 0                                        // wait for swizzle operation
v_accvgpr_write_b32 acc119, v5                     // 
v_accvgpr_read_b32 v5, acc120                      // glvw 7 mb 3 tt1 24 r 0
s_nop 1                                            // v_accvgpr read vgpr after write vgpr: 2 wait states
ds_bpermute_b32 v5, v0, v5, offset:4               // permute edge values
s_waitcnt 0                                        // wait for swizzle operation
v_accvgpr_write_b32 acc120, v5                     // 
v_accvgpr_read_b32 v5, acc121                      // glvw 7 mb 3 tt1 25 r 0
s_nop 1                                            // v_accvgpr read vgpr after write vgpr: 2 wait states
ds_bpermute_b32 v5, v0, v5, offset:4               // permute edge values
s_waitcnt 0                                        // wait for swizzle operation
v_accvgpr_write_b32 acc121, v5                     // 
v_accvgpr_read_b32 v5, acc122                      // glvw 7 mb 3 tt1 26 r 0
s_nop 1                                            // v_accvgpr read vgpr after write vgpr: 2 wait states
ds_bpermute_b32 v5, v0, v5, offset:4               // permute edge values
s_waitcnt 0                                        // wait for swizzle operation
v_accvgpr_write_b32 acc122, v5                     // 
v_accvgpr_read_b32 v5, acc123                      // glvw 7 mb 3 tt1 27 r 0
s_nop 1                                            // v_accvgpr read vgpr after write vgpr: 2 wait states
ds_bpermute_b32 v5, v0, v5, offset:4               // permute edge values
s_waitcnt 0                                        // wait for swizzle operation
v_accvgpr_write_b32 acc123, v5                     // 
v_accvgpr_read_b32 v5, acc124                      // glvw 7 mb 3 tt1 28 r 0
s_nop 1                                            // v_accvgpr read vgpr after write vgpr: 2 wait states
ds_bpermute_b32 v5, v0, v5, offset:4               // permute edge values
s_waitcnt 0                                        // wait for swizzle operation
v_accvgpr_write_b32 acc124, v5                     // 
v_accvgpr_read_b32 v5, acc125                      // glvw 7 mb 3 tt1 29 r 0
s_nop 1                                            // v_accvgpr read vgpr after write vgpr: 2 wait states
ds_bpermute_b32 v5, v0, v5, offset:4               // permute edge values
s_waitcnt 0                                        // wait for swizzle operation
v_accvgpr_write_b32 acc125, v5                     // 
v_accvgpr_read_b32 v5, acc126                      // glvw 7 mb 3 tt1 30 r 0
s_nop 1                                            // v_accvgpr read vgpr after write vgpr: 2 wait states
ds_bpermute_b32 v5, v0, v5, offset:4               // permute edge values
s_waitcnt 0                                        // wait for swizzle operation
v_accvgpr_write_b32 acc126, v5                     // 
v_accvgpr_read_b32 v5, acc127                      // glvw 7 mb 3 tt1 31 r 0
s_nop 1                                            // v_accvgpr read vgpr after write vgpr: 2 wait states
ds_bpermute_b32 v5, v0, v5, offset:4               // permute edge values
s_waitcnt 0                                        // wait for swizzle operation
v_accvgpr_write_b32 acc127, v5                     // 
s_mov_b64 s[32:33], 0xFFFFFFFFFFFFFFFF             // to restore all threads active
s_or_saveexec_b64 vcc, s[32:33]                    // all threads active
s_branch label_0148                                // done shifting


/******************************************/
/* shift d1 r=7 mb=4 vw0                  */
/******************************************/
label_0141: // r7 mb4 vw0 
s_mov_b32 s32, 16                                  // 
_v_cmpx_eq_u32 s[32:33], v4, s32                   // is thread in edge glvw region
v_and_b32 v0, 63, v[vgprSerial]                    // permute register between threads
v_lshlrev_b32 v0, 2, v0                            // permute register between threads
v_accvgpr_read_b32 v5, acc128                      // glvw 7 mb 4 tt1 0 r 0
s_nop 1                                            // v_accvgpr read vgpr after write vgpr: 2 wait states
ds_bpermute_b32 v5, v0, v5, offset:4               // permute edge values
s_waitcnt 0                                        // wait for swizzle operation
v_accvgpr_write_b32 acc128, v5                     // 
v_accvgpr_read_b32 v5, acc129                      // glvw 7 mb 4 tt1 1 r 0
s_nop 1                                            // v_accvgpr read vgpr after write vgpr: 2 wait states
ds_bpermute_b32 v5, v0, v5, offset:4               // permute edge values
s_waitcnt 0                                        // wait for swizzle operation
v_accvgpr_write_b32 acc129, v5                     // 
v_accvgpr_read_b32 v5, acc130                      // glvw 7 mb 4 tt1 2 r 0
s_nop 1                                            // v_accvgpr read vgpr after write vgpr: 2 wait states
ds_bpermute_b32 v5, v0, v5, offset:4               // permute edge values
s_waitcnt 0                                        // wait for swizzle operation
v_accvgpr_write_b32 acc130, v5                     // 
v_accvgpr_read_b32 v5, acc131                      // glvw 7 mb 4 tt1 3 r 0
s_nop 1                                            // v_accvgpr read vgpr after write vgpr: 2 wait states
ds_bpermute_b32 v5, v0, v5, offset:4               // permute edge values
s_waitcnt 0                                        // wait for swizzle operation
v_accvgpr_write_b32 acc131, v5                     // 
v_accvgpr_read_b32 v5, acc132                      // glvw 7 mb 4 tt1 4 r 0
s_nop 1                                            // v_accvgpr read vgpr after write vgpr: 2 wait states
ds_bpermute_b32 v5, v0, v5, offset:4               // permute edge values
s_waitcnt 0                                        // wait for swizzle operation
v_accvgpr_write_b32 acc132, v5                     // 
v_accvgpr_read_b32 v5, acc133                      // glvw 7 mb 4 tt1 5 r 0
s_nop 1                                            // v_accvgpr read vgpr after write vgpr: 2 wait states
ds_bpermute_b32 v5, v0, v5, offset:4               // permute edge values
s_waitcnt 0                                        // wait for swizzle operation
v_accvgpr_write_b32 acc133, v5                     // 
v_accvgpr_read_b32 v5, acc134                      // glvw 7 mb 4 tt1 6 r 0
s_nop 1                                            // v_accvgpr read vgpr after write vgpr: 2 wait states
ds_bpermute_b32 v5, v0, v5, offset:4               // permute edge values
s_waitcnt 0                                        // wait for swizzle operation
v_accvgpr_write_b32 acc134, v5                     // 
v_accvgpr_read_b32 v5, acc135                      // glvw 7 mb 4 tt1 7 r 0
s_nop 1                                            // v_accvgpr read vgpr after write vgpr: 2 wait states
ds_bpermute_b32 v5, v0, v5, offset:4               // permute edge values
s_waitcnt 0                                        // wait for swizzle operation
v_accvgpr_write_b32 acc135, v5                     // 
v_accvgpr_read_b32 v5, acc136                      // glvw 7 mb 4 tt1 8 r 0
s_nop 1                                            // v_accvgpr read vgpr after write vgpr: 2 wait states
ds_bpermute_b32 v5, v0, v5, offset:4               // permute edge values
s_waitcnt 0                                        // wait for swizzle operation
v_accvgpr_write_b32 acc136, v5                     // 
v_accvgpr_read_b32 v5, acc137                      // glvw 7 mb 4 tt1 9 r 0
s_nop 1                                            // v_accvgpr read vgpr after write vgpr: 2 wait states
ds_bpermute_b32 v5, v0, v5, offset:4               // permute edge values
s_waitcnt 0                                        // wait for swizzle operation
v_accvgpr_write_b32 acc137, v5                     // 
v_accvgpr_read_b32 v5, acc138                      // glvw 7 mb 4 tt1 10 r 0
s_nop 1                                            // v_accvgpr read vgpr after write vgpr: 2 wait states
ds_bpermute_b32 v5, v0, v5, offset:4               // permute edge values
s_waitcnt 0                                        // wait for swizzle operation
v_accvgpr_write_b32 acc138, v5                     // 
v_accvgpr_read_b32 v5, acc139                      // glvw 7 mb 4 tt1 11 r 0
s_nop 1                                            // v_accvgpr read vgpr after write vgpr: 2 wait states
ds_bpermute_b32 v5, v0, v5, offset:4               // permute edge values
s_waitcnt 0                                        // wait for swizzle operation
v_accvgpr_write_b32 acc139, v5                     // 
v_accvgpr_read_b32 v5, acc140                      // glvw 7 mb 4 tt1 12 r 0
s_nop 1                                            // v_accvgpr read vgpr after write vgpr: 2 wait states
ds_bpermute_b32 v5, v0, v5, offset:4               // permute edge values
s_waitcnt 0                                        // wait for swizzle operation
v_accvgpr_write_b32 acc140, v5                     // 
v_accvgpr_read_b32 v5, acc141                      // glvw 7 mb 4 tt1 13 r 0
s_nop 1                                            // v_accvgpr read vgpr after write vgpr: 2 wait states
ds_bpermute_b32 v5, v0, v5, offset:4               // permute edge values
s_waitcnt 0                                        // wait for swizzle operation
v_accvgpr_write_b32 acc141, v5                     // 
v_accvgpr_read_b32 v5, acc142                      // glvw 7 mb 4 tt1 14 r 0
s_nop 1                                            // v_accvgpr read vgpr after write vgpr: 2 wait states
ds_bpermute_b32 v5, v0, v5, offset:4               // permute edge values
s_waitcnt 0                                        // wait for swizzle operation
v_accvgpr_write_b32 acc142, v5                     // 
v_accvgpr_read_b32 v5, acc143                      // glvw 7 mb 4 tt1 15 r 0
s_nop 1                                            // v_accvgpr read vgpr after write vgpr: 2 wait states
ds_bpermute_b32 v5, v0, v5, offset:4               // permute edge values
s_waitcnt 0                                        // wait for swizzle operation
v_accvgpr_write_b32 acc143, v5                     // 
v_accvgpr_read_b32 v5, acc144                      // glvw 7 mb 4 tt1 16 r 0
s_nop 1                                            // v_accvgpr read vgpr after write vgpr: 2 wait states
ds_bpermute_b32 v5, v0, v5, offset:4               // permute edge values
s_waitcnt 0                                        // wait for swizzle operation
v_accvgpr_write_b32 acc144, v5                     // 
v_accvgpr_read_b32 v5, acc145                      // glvw 7 mb 4 tt1 17 r 0
s_nop 1                                            // v_accvgpr read vgpr after write vgpr: 2 wait states
ds_bpermute_b32 v5, v0, v5, offset:4               // permute edge values
s_waitcnt 0                                        // wait for swizzle operation
v_accvgpr_write_b32 acc145, v5                     // 
v_accvgpr_read_b32 v5, acc146                      // glvw 7 mb 4 tt1 18 r 0
s_nop 1                                            // v_accvgpr read vgpr after write vgpr: 2 wait states
ds_bpermute_b32 v5, v0, v5, offset:4               // permute edge values
s_waitcnt 0                                        // wait for swizzle operation
v_accvgpr_write_b32 acc146, v5                     // 
v_accvgpr_read_b32 v5, acc147                      // glvw 7 mb 4 tt1 19 r 0
s_nop 1                                            // v_accvgpr read vgpr after write vgpr: 2 wait states
ds_bpermute_b32 v5, v0, v5, offset:4               // permute edge values
s_waitcnt 0                                        // wait for swizzle operation
v_accvgpr_write_b32 acc147, v5                     // 
v_accvgpr_read_b32 v5, acc148                      // glvw 7 mb 4 tt1 20 r 0
s_nop 1                                            // v_accvgpr read vgpr after write vgpr: 2 wait states
ds_bpermute_b32 v5, v0, v5, offset:4               // permute edge values
s_waitcnt 0                                        // wait for swizzle operation
v_accvgpr_write_b32 acc148, v5                     // 
v_accvgpr_read_b32 v5, acc149                      // glvw 7 mb 4 tt1 21 r 0
s_nop 1                                            // v_accvgpr read vgpr after write vgpr: 2 wait states
ds_bpermute_b32 v5, v0, v5, offset:4               // permute edge values
s_waitcnt 0                                        // wait for swizzle operation
v_accvgpr_write_b32 acc149, v5                     // 
v_accvgpr_read_b32 v5, acc150                      // glvw 7 mb 4 tt1 22 r 0
s_nop 1                                            // v_accvgpr read vgpr after write vgpr: 2 wait states
ds_bpermute_b32 v5, v0, v5, offset:4               // permute edge values
s_waitcnt 0                                        // wait for swizzle operation
v_accvgpr_write_b32 acc150, v5                     // 
v_accvgpr_read_b32 v5, acc151                      // glvw 7 mb 4 tt1 23 r 0
s_nop 1                                            // v_accvgpr read vgpr after write vgpr: 2 wait states
ds_bpermute_b32 v5, v0, v5, offset:4               // permute edge values
s_waitcnt 0                                        // wait for swizzle operation
v_accvgpr_write_b32 acc151, v5                     // 
v_accvgpr_read_b32 v5, acc152                      // glvw 7 mb 4 tt1 24 r 0
s_nop 1                                            // v_accvgpr read vgpr after write vgpr: 2 wait states
ds_bpermute_b32 v5, v0, v5, offset:4               // permute edge values
s_waitcnt 0                                        // wait for swizzle operation
v_accvgpr_write_b32 acc152, v5                     // 
v_accvgpr_read_b32 v5, acc153                      // glvw 7 mb 4 tt1 25 r 0
s_nop 1                                            // v_accvgpr read vgpr after write vgpr: 2 wait states
ds_bpermute_b32 v5, v0, v5, offset:4               // permute edge values
s_waitcnt 0                                        // wait for swizzle operation
v_accvgpr_write_b32 acc153, v5                     // 
v_accvgpr_read_b32 v5, acc154                      // glvw 7 mb 4 tt1 26 r 0
s_nop 1                                            // v_accvgpr read vgpr after write vgpr: 2 wait states
ds_bpermute_b32 v5, v0, v5, offset:4               // permute edge values
s_waitcnt 0                                        // wait for swizzle operation
v_accvgpr_write_b32 acc154, v5                     // 
v_accvgpr_read_b32 v5, acc155                      // glvw 7 mb 4 tt1 27 r 0
s_nop 1                                            // v_accvgpr read vgpr after write vgpr: 2 wait states
ds_bpermute_b32 v5, v0, v5, offset:4               // permute edge values
s_waitcnt 0                                        // wait for swizzle operation
v_accvgpr_write_b32 acc155, v5                     // 
v_accvgpr_read_b32 v5, acc156                      // glvw 7 mb 4 tt1 28 r 0
s_nop 1                                            // v_accvgpr read vgpr after write vgpr: 2 wait states
ds_bpermute_b32 v5, v0, v5, offset:4               // permute edge values
s_waitcnt 0                                        // wait for swizzle operation
v_accvgpr_write_b32 acc156, v5                     // 
v_accvgpr_read_b32 v5, acc157                      // glvw 7 mb 4 tt1 29 r 0
s_nop 1                                            // v_accvgpr read vgpr after write vgpr: 2 wait states
ds_bpermute_b32 v5, v0, v5, offset:4               // permute edge values
s_waitcnt 0                                        // wait for swizzle operation
v_accvgpr_write_b32 acc157, v5                     // 
v_accvgpr_read_b32 v5, acc158                      // glvw 7 mb 4 tt1 30 r 0
s_nop 1                                            // v_accvgpr read vgpr after write vgpr: 2 wait states
ds_bpermute_b32 v5, v0, v5, offset:4               // permute edge values
s_waitcnt 0                                        // wait for swizzle operation
v_accvgpr_write_b32 acc158, v5                     // 
v_accvgpr_read_b32 v5, acc159                      // glvw 7 mb 4 tt1 31 r 0
s_nop 1                                            // v_accvgpr read vgpr after write vgpr: 2 wait states
ds_bpermute_b32 v5, v0, v5, offset:4               // permute edge values
s_waitcnt 0                                        // wait for swizzle operation
v_accvgpr_write_b32 acc159, v5                     // 
s_mov_b64 s[32:33], 0xFFFFFFFFFFFFFFFF             // to restore all threads active
s_or_saveexec_b64 vcc, s[32:33]                    // all threads active
s_branch label_0148                                // done shifting


/******************************************/
/* shift d1 r=7 mb=5 vw0                  */
/******************************************/
label_0143: // r7 mb5 vw0 
s_mov_b32 s32, 20                                  // 
_v_cmpx_eq_u32 s[32:33], v4, s32                   // is thread in edge glvw region
v_and_b32 v0, 63, v[vgprSerial]                    // permute register between threads
v_lshlrev_b32 v0, 2, v0                            // permute register between threads
v_accvgpr_read_b32 v5, acc160                      // glvw 7 mb 5 tt1 0 r 0
s_nop 1                                            // v_accvgpr read vgpr after write vgpr: 2 wait states
ds_bpermute_b32 v5, v0, v5, offset:4               // permute edge values
s_waitcnt 0                                        // wait for swizzle operation
v_accvgpr_write_b32 acc160, v5                     // 
v_accvgpr_read_b32 v5, acc161                      // glvw 7 mb 5 tt1 1 r 0
s_nop 1                                            // v_accvgpr read vgpr after write vgpr: 2 wait states
ds_bpermute_b32 v5, v0, v5, offset:4               // permute edge values
s_waitcnt 0                                        // wait for swizzle operation
v_accvgpr_write_b32 acc161, v5                     // 
v_accvgpr_read_b32 v5, acc162                      // glvw 7 mb 5 tt1 2 r 0
s_nop 1                                            // v_accvgpr read vgpr after write vgpr: 2 wait states
ds_bpermute_b32 v5, v0, v5, offset:4               // permute edge values
s_waitcnt 0                                        // wait for swizzle operation
v_accvgpr_write_b32 acc162, v5                     // 
v_accvgpr_read_b32 v5, acc163                      // glvw 7 mb 5 tt1 3 r 0
s_nop 1                                            // v_accvgpr read vgpr after write vgpr: 2 wait states
ds_bpermute_b32 v5, v0, v5, offset:4               // permute edge values
s_waitcnt 0                                        // wait for swizzle operation
v_accvgpr_write_b32 acc163, v5                     // 
v_accvgpr_read_b32 v5, acc164                      // glvw 7 mb 5 tt1 4 r 0
s_nop 1                                            // v_accvgpr read vgpr after write vgpr: 2 wait states
ds_bpermute_b32 v5, v0, v5, offset:4               // permute edge values
s_waitcnt 0                                        // wait for swizzle operation
v_accvgpr_write_b32 acc164, v5                     // 
v_accvgpr_read_b32 v5, acc165                      // glvw 7 mb 5 tt1 5 r 0
s_nop 1                                            // v_accvgpr read vgpr after write vgpr: 2 wait states
ds_bpermute_b32 v5, v0, v5, offset:4               // permute edge values
s_waitcnt 0                                        // wait for swizzle operation
v_accvgpr_write_b32 acc165, v5                     // 
v_accvgpr_read_b32 v5, acc166                      // glvw 7 mb 5 tt1 6 r 0
s_nop 1                                            // v_accvgpr read vgpr after write vgpr: 2 wait states
ds_bpermute_b32 v5, v0, v5, offset:4               // permute edge values
s_waitcnt 0                                        // wait for swizzle operation
v_accvgpr_write_b32 acc166, v5                     // 
v_accvgpr_read_b32 v5, acc167                      // glvw 7 mb 5 tt1 7 r 0
s_nop 1                                            // v_accvgpr read vgpr after write vgpr: 2 wait states
ds_bpermute_b32 v5, v0, v5, offset:4               // permute edge values
s_waitcnt 0                                        // wait for swizzle operation
v_accvgpr_write_b32 acc167, v5                     // 
v_accvgpr_read_b32 v5, acc168                      // glvw 7 mb 5 tt1 8 r 0
s_nop 1                                            // v_accvgpr read vgpr after write vgpr: 2 wait states
ds_bpermute_b32 v5, v0, v5, offset:4               // permute edge values
s_waitcnt 0                                        // wait for swizzle operation
v_accvgpr_write_b32 acc168, v5                     // 
v_accvgpr_read_b32 v5, acc169                      // glvw 7 mb 5 tt1 9 r 0
s_nop 1                                            // v_accvgpr read vgpr after write vgpr: 2 wait states
ds_bpermute_b32 v5, v0, v5, offset:4               // permute edge values
s_waitcnt 0                                        // wait for swizzle operation
v_accvgpr_write_b32 acc169, v5                     // 
v_accvgpr_read_b32 v5, acc170                      // glvw 7 mb 5 tt1 10 r 0
s_nop 1                                            // v_accvgpr read vgpr after write vgpr: 2 wait states
ds_bpermute_b32 v5, v0, v5, offset:4               // permute edge values
s_waitcnt 0                                        // wait for swizzle operation
v_accvgpr_write_b32 acc170, v5                     // 
v_accvgpr_read_b32 v5, acc171                      // glvw 7 mb 5 tt1 11 r 0
s_nop 1                                            // v_accvgpr read vgpr after write vgpr: 2 wait states
ds_bpermute_b32 v5, v0, v5, offset:4               // permute edge values
s_waitcnt 0                                        // wait for swizzle operation
v_accvgpr_write_b32 acc171, v5                     // 
v_accvgpr_read_b32 v5, acc172                      // glvw 7 mb 5 tt1 12 r 0
s_nop 1                                            // v_accvgpr read vgpr after write vgpr: 2 wait states
ds_bpermute_b32 v5, v0, v5, offset:4               // permute edge values
s_waitcnt 0                                        // wait for swizzle operation
v_accvgpr_write_b32 acc172, v5                     // 
v_accvgpr_read_b32 v5, acc173                      // glvw 7 mb 5 tt1 13 r 0
s_nop 1                                            // v_accvgpr read vgpr after write vgpr: 2 wait states
ds_bpermute_b32 v5, v0, v5, offset:4               // permute edge values
s_waitcnt 0                                        // wait for swizzle operation
v_accvgpr_write_b32 acc173, v5                     // 
v_accvgpr_read_b32 v5, acc174                      // glvw 7 mb 5 tt1 14 r 0
s_nop 1                                            // v_accvgpr read vgpr after write vgpr: 2 wait states
ds_bpermute_b32 v5, v0, v5, offset:4               // permute edge values
s_waitcnt 0                                        // wait for swizzle operation
v_accvgpr_write_b32 acc174, v5                     // 
v_accvgpr_read_b32 v5, acc175                      // glvw 7 mb 5 tt1 15 r 0
s_nop 1                                            // v_accvgpr read vgpr after write vgpr: 2 wait states
ds_bpermute_b32 v5, v0, v5, offset:4               // permute edge values
s_waitcnt 0                                        // wait for swizzle operation
v_accvgpr_write_b32 acc175, v5                     // 
v_accvgpr_read_b32 v5, acc176                      // glvw 7 mb 5 tt1 16 r 0
s_nop 1                                            // v_accvgpr read vgpr after write vgpr: 2 wait states
ds_bpermute_b32 v5, v0, v5, offset:4               // permute edge values
s_waitcnt 0                                        // wait for swizzle operation
v_accvgpr_write_b32 acc176, v5                     // 
v_accvgpr_read_b32 v5, acc177                      // glvw 7 mb 5 tt1 17 r 0
s_nop 1                                            // v_accvgpr read vgpr after write vgpr: 2 wait states
ds_bpermute_b32 v5, v0, v5, offset:4               // permute edge values
s_waitcnt 0                                        // wait for swizzle operation
v_accvgpr_write_b32 acc177, v5                     // 
v_accvgpr_read_b32 v5, acc178                      // glvw 7 mb 5 tt1 18 r 0
s_nop 1                                            // v_accvgpr read vgpr after write vgpr: 2 wait states
ds_bpermute_b32 v5, v0, v5, offset:4               // permute edge values
s_waitcnt 0                                        // wait for swizzle operation
v_accvgpr_write_b32 acc178, v5                     // 
v_accvgpr_read_b32 v5, acc179                      // glvw 7 mb 5 tt1 19 r 0
s_nop 1                                            // v_accvgpr read vgpr after write vgpr: 2 wait states
ds_bpermute_b32 v5, v0, v5, offset:4               // permute edge values
s_waitcnt 0                                        // wait for swizzle operation
v_accvgpr_write_b32 acc179, v5                     // 
v_accvgpr_read_b32 v5, acc180                      // glvw 7 mb 5 tt1 20 r 0
s_nop 1                                            // v_accvgpr read vgpr after write vgpr: 2 wait states
ds_bpermute_b32 v5, v0, v5, offset:4               // permute edge values
s_waitcnt 0                                        // wait for swizzle operation
v_accvgpr_write_b32 acc180, v5                     // 
v_accvgpr_read_b32 v5, acc181                      // glvw 7 mb 5 tt1 21 r 0
s_nop 1                                            // v_accvgpr read vgpr after write vgpr: 2 wait states
ds_bpermute_b32 v5, v0, v5, offset:4               // permute edge values
s_waitcnt 0                                        // wait for swizzle operation
v_accvgpr_write_b32 acc181, v5                     // 
v_accvgpr_read_b32 v5, acc182                      // glvw 7 mb 5 tt1 22 r 0
s_nop 1                                            // v_accvgpr read vgpr after write vgpr: 2 wait states
ds_bpermute_b32 v5, v0, v5, offset:4               // permute edge values
s_waitcnt 0                                        // wait for swizzle operation
v_accvgpr_write_b32 acc182, v5                     // 
v_accvgpr_read_b32 v5, acc183                      // glvw 7 mb 5 tt1 23 r 0
s_nop 1                                            // v_accvgpr read vgpr after write vgpr: 2 wait states
ds_bpermute_b32 v5, v0, v5, offset:4               // permute edge values
s_waitcnt 0                                        // wait for swizzle operation
v_accvgpr_write_b32 acc183, v5                     // 
v_accvgpr_read_b32 v5, acc184                      // glvw 7 mb 5 tt1 24 r 0
s_nop 1                                            // v_accvgpr read vgpr after write vgpr: 2 wait states
ds_bpermute_b32 v5, v0, v5, offset:4               // permute edge values
s_waitcnt 0                                        // wait for swizzle operation
v_accvgpr_write_b32 acc184, v5                     // 
v_accvgpr_read_b32 v5, acc185                      // glvw 7 mb 5 tt1 25 r 0
s_nop 1                                            // v_accvgpr read vgpr after write vgpr: 2 wait states
ds_bpermute_b32 v5, v0, v5, offset:4               // permute edge values
s_waitcnt 0                                        // wait for swizzle operation
v_accvgpr_write_b32 acc185, v5                     // 
v_accvgpr_read_b32 v5, acc186                      // glvw 7 mb 5 tt1 26 r 0
s_nop 1                                            // v_accvgpr read vgpr after write vgpr: 2 wait states
ds_bpermute_b32 v5, v0, v5, offset:4               // permute edge values
s_waitcnt 0                                        // wait for swizzle operation
v_accvgpr_write_b32 acc186, v5                     // 
v_accvgpr_read_b32 v5, acc187                      // glvw 7 mb 5 tt1 27 r 0
s_nop 1                                            // v_accvgpr read vgpr after write vgpr: 2 wait states
ds_bpermute_b32 v5, v0, v5, offset:4               // permute edge values
s_waitcnt 0                                        // wait for swizzle operation
v_accvgpr_write_b32 acc187, v5                     // 
v_accvgpr_read_b32 v5, acc188                      // glvw 7 mb 5 tt1 28 r 0
s_nop 1                                            // v_accvgpr read vgpr after write vgpr: 2 wait states
ds_bpermute_b32 v5, v0, v5, offset:4               // permute edge values
s_waitcnt 0                                        // wait for swizzle operation
v_accvgpr_write_b32 acc188, v5                     // 
v_accvgpr_read_b32 v5, acc189                      // glvw 7 mb 5 tt1 29 r 0
s_nop 1                                            // v_accvgpr read vgpr after write vgpr: 2 wait states
ds_bpermute_b32 v5, v0, v5, offset:4               // permute edge values
s_waitcnt 0                                        // wait for swizzle operation
v_accvgpr_write_b32 acc189, v5                     // 
v_accvgpr_read_b32 v5, acc190                      // glvw 7 mb 5 tt1 30 r 0
s_nop 1                                            // v_accvgpr read vgpr after write vgpr: 2 wait states
ds_bpermute_b32 v5, v0, v5, offset:4               // permute edge values
s_waitcnt 0                                        // wait for swizzle operation
v_accvgpr_write_b32 acc190, v5                     // 
v_accvgpr_read_b32 v5, acc191                      // glvw 7 mb 5 tt1 31 r 0
s_nop 1                                            // v_accvgpr read vgpr after write vgpr: 2 wait states
ds_bpermute_b32 v5, v0, v5, offset:4               // permute edge values
s_waitcnt 0                                        // wait for swizzle operation
v_accvgpr_write_b32 acc191, v5                     // 
s_mov_b64 s[32:33], 0xFFFFFFFFFFFFFFFF             // to restore all threads active
s_or_saveexec_b64 vcc, s[32:33]                    // all threads active
s_branch label_0148                                // done shifting


/******************************************/
/* shift d1 r=7 mb=6 vw0                  */
/******************************************/
label_0145: // r7 mb6 vw0 
s_mov_b32 s32, 24                                  // 
_v_cmpx_eq_u32 s[32:33], v4, s32                   // is thread in edge glvw region
v_and_b32 v0, 63, v[vgprSerial]                    // permute register between threads
v_lshlrev_b32 v0, 2, v0                            // permute register between threads
v_accvgpr_read_b32 v5, acc192                      // glvw 7 mb 6 tt1 0 r 0
s_nop 1                                            // v_accvgpr read vgpr after write vgpr: 2 wait states
ds_bpermute_b32 v5, v0, v5, offset:4               // permute edge values
s_waitcnt 0                                        // wait for swizzle operation
v_accvgpr_write_b32 acc192, v5                     // 
v_accvgpr_read_b32 v5, acc193                      // glvw 7 mb 6 tt1 1 r 0
s_nop 1                                            // v_accvgpr read vgpr after write vgpr: 2 wait states
ds_bpermute_b32 v5, v0, v5, offset:4               // permute edge values
s_waitcnt 0                                        // wait for swizzle operation
v_accvgpr_write_b32 acc193, v5                     // 
v_accvgpr_read_b32 v5, acc194                      // glvw 7 mb 6 tt1 2 r 0
s_nop 1                                            // v_accvgpr read vgpr after write vgpr: 2 wait states
ds_bpermute_b32 v5, v0, v5, offset:4               // permute edge values
s_waitcnt 0                                        // wait for swizzle operation
v_accvgpr_write_b32 acc194, v5                     // 
v_accvgpr_read_b32 v5, acc195                      // glvw 7 mb 6 tt1 3 r 0
s_nop 1                                            // v_accvgpr read vgpr after write vgpr: 2 wait states
ds_bpermute_b32 v5, v0, v5, offset:4               // permute edge values
s_waitcnt 0                                        // wait for swizzle operation
v_accvgpr_write_b32 acc195, v5                     // 
v_accvgpr_read_b32 v5, acc196                      // glvw 7 mb 6 tt1 4 r 0
s_nop 1                                            // v_accvgpr read vgpr after write vgpr: 2 wait states
ds_bpermute_b32 v5, v0, v5, offset:4               // permute edge values
s_waitcnt 0                                        // wait for swizzle operation
v_accvgpr_write_b32 acc196, v5                     // 
v_accvgpr_read_b32 v5, acc197                      // glvw 7 mb 6 tt1 5 r 0
s_nop 1                                            // v_accvgpr read vgpr after write vgpr: 2 wait states
ds_bpermute_b32 v5, v0, v5, offset:4               // permute edge values
s_waitcnt 0                                        // wait for swizzle operation
v_accvgpr_write_b32 acc197, v5                     // 
v_accvgpr_read_b32 v5, acc198                      // glvw 7 mb 6 tt1 6 r 0
s_nop 1                                            // v_accvgpr read vgpr after write vgpr: 2 wait states
ds_bpermute_b32 v5, v0, v5, offset:4               // permute edge values
s_waitcnt 0                                        // wait for swizzle operation
v_accvgpr_write_b32 acc198, v5                     // 
v_accvgpr_read_b32 v5, acc199                      // glvw 7 mb 6 tt1 7 r 0
s_nop 1                                            // v_accvgpr read vgpr after write vgpr: 2 wait states
ds_bpermute_b32 v5, v0, v5, offset:4               // permute edge values
s_waitcnt 0                                        // wait for swizzle operation
v_accvgpr_write_b32 acc199, v5                     // 
v_accvgpr_read_b32 v5, acc200                      // glvw 7 mb 6 tt1 8 r 0
s_nop 1                                            // v_accvgpr read vgpr after write vgpr: 2 wait states
ds_bpermute_b32 v5, v0, v5, offset:4               // permute edge values
s_waitcnt 0                                        // wait for swizzle operation
v_accvgpr_write_b32 acc200, v5                     // 
v_accvgpr_read_b32 v5, acc201                      // glvw 7 mb 6 tt1 9 r 0
s_nop 1                                            // v_accvgpr read vgpr after write vgpr: 2 wait states
ds_bpermute_b32 v5, v0, v5, offset:4               // permute edge values
s_waitcnt 0                                        // wait for swizzle operation
v_accvgpr_write_b32 acc201, v5                     // 
v_accvgpr_read_b32 v5, acc202                      // glvw 7 mb 6 tt1 10 r 0
s_nop 1                                            // v_accvgpr read vgpr after write vgpr: 2 wait states
ds_bpermute_b32 v5, v0, v5, offset:4               // permute edge values
s_waitcnt 0                                        // wait for swizzle operation
v_accvgpr_write_b32 acc202, v5                     // 
v_accvgpr_read_b32 v5, acc203                      // glvw 7 mb 6 tt1 11 r 0
s_nop 1                                            // v_accvgpr read vgpr after write vgpr: 2 wait states
ds_bpermute_b32 v5, v0, v5, offset:4               // permute edge values
s_waitcnt 0                                        // wait for swizzle operation
v_accvgpr_write_b32 acc203, v5                     // 
v_accvgpr_read_b32 v5, acc204                      // glvw 7 mb 6 tt1 12 r 0
s_nop 1                                            // v_accvgpr read vgpr after write vgpr: 2 wait states
ds_bpermute_b32 v5, v0, v5, offset:4               // permute edge values
s_waitcnt 0                                        // wait for swizzle operation
v_accvgpr_write_b32 acc204, v5                     // 
v_accvgpr_read_b32 v5, acc205                      // glvw 7 mb 6 tt1 13 r 0
s_nop 1                                            // v_accvgpr read vgpr after write vgpr: 2 wait states
ds_bpermute_b32 v5, v0, v5, offset:4               // permute edge values
s_waitcnt 0                                        // wait for swizzle operation
v_accvgpr_write_b32 acc205, v5                     // 
v_accvgpr_read_b32 v5, acc206                      // glvw 7 mb 6 tt1 14 r 0
s_nop 1                                            // v_accvgpr read vgpr after write vgpr: 2 wait states
ds_bpermute_b32 v5, v0, v5, offset:4               // permute edge values
s_waitcnt 0                                        // wait for swizzle operation
v_accvgpr_write_b32 acc206, v5                     // 
v_accvgpr_read_b32 v5, acc207                      // glvw 7 mb 6 tt1 15 r 0
s_nop 1                                            // v_accvgpr read vgpr after write vgpr: 2 wait states
ds_bpermute_b32 v5, v0, v5, offset:4               // permute edge values
s_waitcnt 0                                        // wait for swizzle operation
v_accvgpr_write_b32 acc207, v5                     // 
v_accvgpr_read_b32 v5, acc208                      // glvw 7 mb 6 tt1 16 r 0
s_nop 1                                            // v_accvgpr read vgpr after write vgpr: 2 wait states
ds_bpermute_b32 v5, v0, v5, offset:4               // permute edge values
s_waitcnt 0                                        // wait for swizzle operation
v_accvgpr_write_b32 acc208, v5                     // 
v_accvgpr_read_b32 v5, acc209                      // glvw 7 mb 6 tt1 17 r 0
s_nop 1                                            // v_accvgpr read vgpr after write vgpr: 2 wait states
ds_bpermute_b32 v5, v0, v5, offset:4               // permute edge values
s_waitcnt 0                                        // wait for swizzle operation
v_accvgpr_write_b32 acc209, v5                     // 
v_accvgpr_read_b32 v5, acc210                      // glvw 7 mb 6 tt1 18 r 0
s_nop 1                                            // v_accvgpr read vgpr after write vgpr: 2 wait states
ds_bpermute_b32 v5, v0, v5, offset:4               // permute edge values
s_waitcnt 0                                        // wait for swizzle operation
v_accvgpr_write_b32 acc210, v5                     // 
v_accvgpr_read_b32 v5, acc211                      // glvw 7 mb 6 tt1 19 r 0
s_nop 1                                            // v_accvgpr read vgpr after write vgpr: 2 wait states
ds_bpermute_b32 v5, v0, v5, offset:4               // permute edge values
s_waitcnt 0                                        // wait for swizzle operation
v_accvgpr_write_b32 acc211, v5                     // 
v_accvgpr_read_b32 v5, acc212                      // glvw 7 mb 6 tt1 20 r 0
s_nop 1                                            // v_accvgpr read vgpr after write vgpr: 2 wait states
ds_bpermute_b32 v5, v0, v5, offset:4               // permute edge values
s_waitcnt 0                                        // wait for swizzle operation
v_accvgpr_write_b32 acc212, v5                     // 
v_accvgpr_read_b32 v5, acc213                      // glvw 7 mb 6 tt1 21 r 0
s_nop 1                                            // v_accvgpr read vgpr after write vgpr: 2 wait states
ds_bpermute_b32 v5, v0, v5, offset:4               // permute edge values
s_waitcnt 0                                        // wait for swizzle operation
v_accvgpr_write_b32 acc213, v5                     // 
v_accvgpr_read_b32 v5, acc214                      // glvw 7 mb 6 tt1 22 r 0
s_nop 1                                            // v_accvgpr read vgpr after write vgpr: 2 wait states
ds_bpermute_b32 v5, v0, v5, offset:4               // permute edge values
s_waitcnt 0                                        // wait for swizzle operation
v_accvgpr_write_b32 acc214, v5                     // 
v_accvgpr_read_b32 v5, acc215                      // glvw 7 mb 6 tt1 23 r 0
s_nop 1                                            // v_accvgpr read vgpr after write vgpr: 2 wait states
ds_bpermute_b32 v5, v0, v5, offset:4               // permute edge values
s_waitcnt 0                                        // wait for swizzle operation
v_accvgpr_write_b32 acc215, v5                     // 
v_accvgpr_read_b32 v5, acc216                      // glvw 7 mb 6 tt1 24 r 0
s_nop 1                                            // v_accvgpr read vgpr after write vgpr: 2 wait states
ds_bpermute_b32 v5, v0, v5, offset:4               // permute edge values
s_waitcnt 0                                        // wait for swizzle operation
v_accvgpr_write_b32 acc216, v5                     // 
v_accvgpr_read_b32 v5, acc217                      // glvw 7 mb 6 tt1 25 r 0
s_nop 1                                            // v_accvgpr read vgpr after write vgpr: 2 wait states
ds_bpermute_b32 v5, v0, v5, offset:4               // permute edge values
s_waitcnt 0                                        // wait for swizzle operation
v_accvgpr_write_b32 acc217, v5                     // 
v_accvgpr_read_b32 v5, acc218                      // glvw 7 mb 6 tt1 26 r 0
s_nop 1                                            // v_accvgpr read vgpr after write vgpr: 2 wait states
ds_bpermute_b32 v5, v0, v5, offset:4               // permute edge values
s_waitcnt 0                                        // wait for swizzle operation
v_accvgpr_write_b32 acc218, v5                     // 
v_accvgpr_read_b32 v5, acc219                      // glvw 7 mb 6 tt1 27 r 0
s_nop 1                                            // v_accvgpr read vgpr after write vgpr: 2 wait states
ds_bpermute_b32 v5, v0, v5, offset:4               // permute edge values
s_waitcnt 0                                        // wait for swizzle operation
v_accvgpr_write_b32 acc219, v5                     // 
v_accvgpr_read_b32 v5, acc220                      // glvw 7 mb 6 tt1 28 r 0
s_nop 1                                            // v_accvgpr read vgpr after write vgpr: 2 wait states
ds_bpermute_b32 v5, v0, v5, offset:4               // permute edge values
s_waitcnt 0                                        // wait for swizzle operation
v_accvgpr_write_b32 acc220, v5                     // 
v_accvgpr_read_b32 v5, acc221                      // glvw 7 mb 6 tt1 29 r 0
s_nop 1                                            // v_accvgpr read vgpr after write vgpr: 2 wait states
ds_bpermute_b32 v5, v0, v5, offset:4               // permute edge values
s_waitcnt 0                                        // wait for swizzle operation
v_accvgpr_write_b32 acc221, v5                     // 
v_accvgpr_read_b32 v5, acc222                      // glvw 7 mb 6 tt1 30 r 0
s_nop 1                                            // v_accvgpr read vgpr after write vgpr: 2 wait states
ds_bpermute_b32 v5, v0, v5, offset:4               // permute edge values
s_waitcnt 0                                        // wait for swizzle operation
v_accvgpr_write_b32 acc222, v5                     // 
v_accvgpr_read_b32 v5, acc223                      // glvw 7 mb 6 tt1 31 r 0
s_nop 1                                            // v_accvgpr read vgpr after write vgpr: 2 wait states
ds_bpermute_b32 v5, v0, v5, offset:4               // permute edge values
s_waitcnt 0                                        // wait for swizzle operation
v_accvgpr_write_b32 acc223, v5                     // 
s_mov_b64 s[32:33], 0xFFFFFFFFFFFFFFFF             // to restore all threads active
s_or_saveexec_b64 vcc, s[32:33]                    // all threads active
s_branch label_0148                                // done shifting


/******************************************/
/* shift d1 r=7 mb=7 vw0                  */
/******************************************/
label_0147: // r7 mb7 vw0 
s_mov_b32 s32, 28                                  // 
_v_cmpx_eq_u32 s[32:33], v4, s32                   // is thread in edge glvw region
v_and_b32 v0, 63, v[vgprSerial]                    // permute register between threads
v_lshlrev_b32 v0, 2, v0                            // permute register between threads
v_accvgpr_read_b32 v5, acc224                      // glvw 7 mb 7 tt1 0 r 0
s_nop 1                                            // v_accvgpr read vgpr after write vgpr: 2 wait states
ds_bpermute_b32 v5, v0, v5, offset:4               // permute edge values
s_waitcnt 0                                        // wait for swizzle operation
v_accvgpr_write_b32 acc224, v5                     // 
v_accvgpr_read_b32 v5, acc225                      // glvw 7 mb 7 tt1 1 r 0
s_nop 1                                            // v_accvgpr read vgpr after write vgpr: 2 wait states
ds_bpermute_b32 v5, v0, v5, offset:4               // permute edge values
s_waitcnt 0                                        // wait for swizzle operation
v_accvgpr_write_b32 acc225, v5                     // 
v_accvgpr_read_b32 v5, acc226                      // glvw 7 mb 7 tt1 2 r 0
s_nop 1                                            // v_accvgpr read vgpr after write vgpr: 2 wait states
ds_bpermute_b32 v5, v0, v5, offset:4               // permute edge values
s_waitcnt 0                                        // wait for swizzle operation
v_accvgpr_write_b32 acc226, v5                     // 
v_accvgpr_read_b32 v5, acc227                      // glvw 7 mb 7 tt1 3 r 0
s_nop 1                                            // v_accvgpr read vgpr after write vgpr: 2 wait states
ds_bpermute_b32 v5, v0, v5, offset:4               // permute edge values
s_waitcnt 0                                        // wait for swizzle operation
v_accvgpr_write_b32 acc227, v5                     // 
v_accvgpr_read_b32 v5, acc228                      // glvw 7 mb 7 tt1 4 r 0
s_nop 1                                            // v_accvgpr read vgpr after write vgpr: 2 wait states
ds_bpermute_b32 v5, v0, v5, offset:4               // permute edge values
s_waitcnt 0                                        // wait for swizzle operation
v_accvgpr_write_b32 acc228, v5                     // 
v_accvgpr_read_b32 v5, acc229                      // glvw 7 mb 7 tt1 5 r 0
s_nop 1                                            // v_accvgpr read vgpr after write vgpr: 2 wait states
ds_bpermute_b32 v5, v0, v5, offset:4               // permute edge values
s_waitcnt 0                                        // wait for swizzle operation
v_accvgpr_write_b32 acc229, v5                     // 
v_accvgpr_read_b32 v5, acc230                      // glvw 7 mb 7 tt1 6 r 0
s_nop 1                                            // v_accvgpr read vgpr after write vgpr: 2 wait states
ds_bpermute_b32 v5, v0, v5, offset:4               // permute edge values
s_waitcnt 0                                        // wait for swizzle operation
v_accvgpr_write_b32 acc230, v5                     // 
v_accvgpr_read_b32 v5, acc231                      // glvw 7 mb 7 tt1 7 r 0
s_nop 1                                            // v_accvgpr read vgpr after write vgpr: 2 wait states
ds_bpermute_b32 v5, v0, v5, offset:4               // permute edge values
s_waitcnt 0                                        // wait for swizzle operation
v_accvgpr_write_b32 acc231, v5                     // 
v_accvgpr_read_b32 v5, acc232                      // glvw 7 mb 7 tt1 8 r 0
s_nop 1                                            // v_accvgpr read vgpr after write vgpr: 2 wait states
ds_bpermute_b32 v5, v0, v5, offset:4               // permute edge values
s_waitcnt 0                                        // wait for swizzle operation
v_accvgpr_write_b32 acc232, v5                     // 
v_accvgpr_read_b32 v5, acc233                      // glvw 7 mb 7 tt1 9 r 0
s_nop 1                                            // v_accvgpr read vgpr after write vgpr: 2 wait states
ds_bpermute_b32 v5, v0, v5, offset:4               // permute edge values
s_waitcnt 0                                        // wait for swizzle operation
v_accvgpr_write_b32 acc233, v5                     // 
v_accvgpr_read_b32 v5, acc234                      // glvw 7 mb 7 tt1 10 r 0
s_nop 1                                            // v_accvgpr read vgpr after write vgpr: 2 wait states
ds_bpermute_b32 v5, v0, v5, offset:4               // permute edge values
s_waitcnt 0                                        // wait for swizzle operation
v_accvgpr_write_b32 acc234, v5                     // 
v_accvgpr_read_b32 v5, acc235                      // glvw 7 mb 7 tt1 11 r 0
s_nop 1                                            // v_accvgpr read vgpr after write vgpr: 2 wait states
ds_bpermute_b32 v5, v0, v5, offset:4               // permute edge values
s_waitcnt 0                                        // wait for swizzle operation
v_accvgpr_write_b32 acc235, v5                     // 
v_accvgpr_read_b32 v5, acc236                      // glvw 7 mb 7 tt1 12 r 0
s_nop 1                                            // v_accvgpr read vgpr after write vgpr: 2 wait states
ds_bpermute_b32 v5, v0, v5, offset:4               // permute edge values
s_waitcnt 0                                        // wait for swizzle operation
v_accvgpr_write_b32 acc236, v5                     // 
v_accvgpr_read_b32 v5, acc237                      // glvw 7 mb 7 tt1 13 r 0
s_nop 1                                            // v_accvgpr read vgpr after write vgpr: 2 wait states
ds_bpermute_b32 v5, v0, v5, offset:4               // permute edge values
s_waitcnt 0                                        // wait for swizzle operation
v_accvgpr_write_b32 acc237, v5                     // 
v_accvgpr_read_b32 v5, acc238                      // glvw 7 mb 7 tt1 14 r 0
s_nop 1                                            // v_accvgpr read vgpr after write vgpr: 2 wait states
ds_bpermute_b32 v5, v0, v5, offset:4               // permute edge values
s_waitcnt 0                                        // wait for swizzle operation
v_accvgpr_write_b32 acc238, v5                     // 
v_accvgpr_read_b32 v5, acc239                      // glvw 7 mb 7 tt1 15 r 0
s_nop 1                                            // v_accvgpr read vgpr after write vgpr: 2 wait states
ds_bpermute_b32 v5, v0, v5, offset:4               // permute edge values
s_waitcnt 0                                        // wait for swizzle operation
v_accvgpr_write_b32 acc239, v5                     // 
v_accvgpr_read_b32 v5, acc240                      // glvw 7 mb 7 tt1 16 r 0
s_nop 1                                            // v_accvgpr read vgpr after write vgpr: 2 wait states
ds_bpermute_b32 v5, v0, v5, offset:4               // permute edge values
s_waitcnt 0                                        // wait for swizzle operation
v_accvgpr_write_b32 acc240, v5                     // 
v_accvgpr_read_b32 v5, acc241                      // glvw 7 mb 7 tt1 17 r 0
s_nop 1                                            // v_accvgpr read vgpr after write vgpr: 2 wait states
ds_bpermute_b32 v5, v0, v5, offset:4               // permute edge values
s_waitcnt 0                                        // wait for swizzle operation
v_accvgpr_write_b32 acc241, v5                     // 
v_accvgpr_read_b32 v5, acc242                      // glvw 7 mb 7 tt1 18 r 0
s_nop 1                                            // v_accvgpr read vgpr after write vgpr: 2 wait states
ds_bpermute_b32 v5, v0, v5, offset:4               // permute edge values
s_waitcnt 0                                        // wait for swizzle operation
v_accvgpr_write_b32 acc242, v5                     // 
v_accvgpr_read_b32 v5, acc243                      // glvw 7 mb 7 tt1 19 r 0
s_nop 1                                            // v_accvgpr read vgpr after write vgpr: 2 wait states
ds_bpermute_b32 v5, v0, v5, offset:4               // permute edge values
s_waitcnt 0                                        // wait for swizzle operation
v_accvgpr_write_b32 acc243, v5                     // 
v_accvgpr_read_b32 v5, acc244                      // glvw 7 mb 7 tt1 20 r 0
s_nop 1                                            // v_accvgpr read vgpr after write vgpr: 2 wait states
ds_bpermute_b32 v5, v0, v5, offset:4               // permute edge values
s_waitcnt 0                                        // wait for swizzle operation
v_accvgpr_write_b32 acc244, v5                     // 
v_accvgpr_read_b32 v5, acc245                      // glvw 7 mb 7 tt1 21 r 0
s_nop 1                                            // v_accvgpr read vgpr after write vgpr: 2 wait states
ds_bpermute_b32 v5, v0, v5, offset:4               // permute edge values
s_waitcnt 0                                        // wait for swizzle operation
v_accvgpr_write_b32 acc245, v5                     // 
v_accvgpr_read_b32 v5, acc246                      // glvw 7 mb 7 tt1 22 r 0
s_nop 1                                            // v_accvgpr read vgpr after write vgpr: 2 wait states
ds_bpermute_b32 v5, v0, v5, offset:4               // permute edge values
s_waitcnt 0                                        // wait for swizzle operation
v_accvgpr_write_b32 acc246, v5                     // 
v_accvgpr_read_b32 v5, acc247                      // glvw 7 mb 7 tt1 23 r 0
s_nop 1                                            // v_accvgpr read vgpr after write vgpr: 2 wait states
ds_bpermute_b32 v5, v0, v5, offset:4               // permute edge values
s_waitcnt 0                                        // wait for swizzle operation
v_accvgpr_write_b32 acc247, v5                     // 
v_accvgpr_read_b32 v5, acc248                      // glvw 7 mb 7 tt1 24 r 0
s_nop 1                                            // v_accvgpr read vgpr after write vgpr: 2 wait states
ds_bpermute_b32 v5, v0, v5, offset:4               // permute edge values
s_waitcnt 0                                        // wait for swizzle operation
v_accvgpr_write_b32 acc248, v5                     // 
v_accvgpr_read_b32 v5, acc249                      // glvw 7 mb 7 tt1 25 r 0
s_nop 1                                            // v_accvgpr read vgpr after write vgpr: 2 wait states
ds_bpermute_b32 v5, v0, v5, offset:4               // permute edge values
s_waitcnt 0                                        // wait for swizzle operation
v_accvgpr_write_b32 acc249, v5                     // 
v_accvgpr_read_b32 v5, acc250                      // glvw 7 mb 7 tt1 26 r 0
s_nop 1                                            // v_accvgpr read vgpr after write vgpr: 2 wait states
ds_bpermute_b32 v5, v0, v5, offset:4               // permute edge values
s_waitcnt 0                                        // wait for swizzle operation
v_accvgpr_write_b32 acc250, v5                     // 
v_accvgpr_read_b32 v5, acc251                      // glvw 7 mb 7 tt1 27 r 0
s_nop 1                                            // v_accvgpr read vgpr after write vgpr: 2 wait states
ds_bpermute_b32 v5, v0, v5, offset:4               // permute edge values
s_waitcnt 0                                        // wait for swizzle operation
v_accvgpr_write_b32 acc251, v5                     // 
v_accvgpr_read_b32 v5, acc252                      // glvw 7 mb 7 tt1 28 r 0
s_nop 1                                            // v_accvgpr read vgpr after write vgpr: 2 wait states
ds_bpermute_b32 v5, v0, v5, offset:4               // permute edge values
s_waitcnt 0                                        // wait for swizzle operation
v_accvgpr_write_b32 acc252, v5                     // 
v_accvgpr_read_b32 v5, acc253                      // glvw 7 mb 7 tt1 29 r 0
s_nop 1                                            // v_accvgpr read vgpr after write vgpr: 2 wait states
ds_bpermute_b32 v5, v0, v5, offset:4               // permute edge values
s_waitcnt 0                                        // wait for swizzle operation
v_accvgpr_write_b32 acc253, v5                     // 
v_accvgpr_read_b32 v5, acc254                      // glvw 7 mb 7 tt1 30 r 0
s_nop 1                                            // v_accvgpr read vgpr after write vgpr: 2 wait states
ds_bpermute_b32 v5, v0, v5, offset:4               // permute edge values
s_waitcnt 0                                        // wait for swizzle operation
v_accvgpr_write_b32 acc254, v5                     // 
v_accvgpr_read_b32 v5, acc255                      // glvw 7 mb 7 tt1 31 r 0
s_nop 1                                            // v_accvgpr read vgpr after write vgpr: 2 wait states
ds_bpermute_b32 v5, v0, v5, offset:4               // permute edge values
s_waitcnt 0                                        // wait for swizzle operation
v_accvgpr_write_b32 acc255, v5                     // 
s_mov_b64 s[32:33], 0xFFFFFFFFFFFFFFFF             // to restore all threads active
s_or_saveexec_b64 vcc, s[32:33]                    // all threads active
s_branch label_0148                                // done shifting

label_0148: // end shift0



/* not-LocalSplitU: global write indices */

/* computeStoreVgprs */
v_lshrrev_b32 v4, 6, v[vgprSerial]                 // v4 = v[vgprSerial] / 64
v_lshrrev_b32 v1, 2, v4                            // v1 = v4 / 4
v_mul_lo_u32 v1, 0x20, v1                          // wave coordination offset 1
v_and_b32 v5, 31, v[vgprSerial]                    // v5 = v[vgprSerial] % 32
_v_add_lshl_u32 v1, v5, v1, 0                      // coordination 1 = vwb *(wave_id1 + tid1)
v_mul_lo_u32 v2, v1, s[sgprStrideC1J]              //  offset 1
v_mul_lo_u32 v3, v1, s[sgprStrideD1J]              //  offset 1
v_and_b32 v0, 63, v[vgprSerial]                    // v0 = v[vgprSerial] % 64
v_lshrrev_b32 v0, 5, v0                            // v0 = v0 / 32
v_lshlrev_b32 v0, 0x2, v0                          // thread0 * continuous_output
v_and_b32 v5, 3, v4                                // v5 = v4 % 4
v_mul_lo_u32 v5, 0x20, v5                          // wave coordination offset 0
_v_add_lshl_u32 v0, v5, v0, 0                      // coordination 0 = vwa *(wave_id0 + tid0)
s_mul_i32 s31, 256, s[sgprWorkGroup0]              // wgp0 * MT0
_v_add_u32 v0, s31, v0                             // coord 0 = (tid0/MI_m)*4 + waveG0*MIB_m + MT0*SG0
s_mul_i32 s31, 256, s[sgprWorkGroup1]              // wgp1 * MT1
_v_add_u32 v1, s31, v1                             // coord 1 = (tid0%MI_m) + waveG1*MIB_n + MT1*SG1
/* Store Remap Local Write address */
v_lshrrev_b32 v5, 8, v[vgprSerial]                 // v5 = v[vgprSerial] / 256
v_and_b32 v4, 255, v[vgprSerial]                   // v4 = v[vgprSerial] % 256
v_mul_lo_u32 v13, 0x20, v5                         // coord1 offset of LDS for each Wave
v_and_b32 v5, 0x1f, v[vgprSerial]                  // coord1 offset of LDS for each thread
_v_add_u32 v5, v13, v5                             // coord1 offset in MacroTile
v_mov_b32 v11, 0x104                               // lds stride = MT0 + PAD
v_mul_lo_u32 v9, v5, v11                           // lds coord1 offset = Col-id* lds stride
v_lshrrev_b32 v10, 6, v4                           // v10 = v4 / 64
v_and_b32 v4, 63, v4                               // v4 = v4 % 64
v_lshrrev_b32 v12, 0x5, v4                         // tid / matrixInstN
v_lshlrev_b32 v12, 0x2, v12                        // lds coord0 offset *= 4 (each thread hold 4 element)
v_mad_u32_u24 v12, 32, v10, v12                    // coord0 += waveCoord0 * wave M shape(blockM*MiM)
_v_add_lshl_u32 v7, v9, v12, 0x2                   // local write C address

/* Store Remap Local Read address */
v_lshrrev_b32 v5, 6, v[vgprSerial]                 // v5 = v[vgprSerial] / 64
v_and_b32 v4, 63, v[vgprSerial]                    // v4 = v[vgprSerial] % 64
v_mul_lo_u32 v13, 0x8, v5                          // coord1 offset of LDS for each Wave
v_lshrrev_b32 v10, 0x6, v4                         // tid / nThreadPerCol
_v_add_u32 v6, v13, v10                            // coord1 offset in MacroTile
v_mul_lo_u32 v9, v6, v11                           // lds coord1 offset = Col-id* lds stride
v_and_b32 v12, 0x3f, v4                            // coord0 offset of LDS for each thread
v_lshlrev_b32 v12, 0x2, v12                        // lds coord0 offset *= gwvw (each thread hold gwvw element)
_v_add_lshl_u32 v8, v9, v12, 0x2                   // local read C address

/* Store Remap global write coord0 and coord1 */
v_lshrrev_b32 v5, 8, v[vgprSerial]                 // v5 = v[vgprSerial] / 256
v_and_b32 v4, 255, v[vgprSerial]                   // v4 = v[vgprSerial] % 256
v_mul_lo_u32 v13, 0x20, v5                         // coord1 offset of global memory for each Wave
v_lshrrev_b32 v5, 6, v4                            // v5 = v4 / 64
v_and_b32 v4, 63, v4                               // v4 = v4 % 64
v_mad_u32_u24 v13, 8, v5, v13                      // waveCoord1 += waveCoord0 * MiN / WaveGroupM
v_lshrrev_b32 v10, 0x6, v4                         // tid / nThreadPerCol
_v_add_u32 v6, v13, v10                            // coord1 offset in MacroTile
s_mul_i32 s32, 0x100, s[sgprWorkGroup0]            // s32 = wg0*MT0
_v_add_co_u32 v4, vcc, s32, v12                    // coord0 = coord0 + wg0 * MT0
s_mul_i32 s33, MT1, s[sgprWorkGroup1]              // <- wg1*MT1
_v_add_co_u32 v5, vcc, s33, v6                     // coord1 = tid1*VW + wg1*MT1

s_waitcnt lgkmcnt(0) & vmcnt(0)                    // force waitcnt0
s_barrier //StoreRemap Start


/* not-LocalSplitU: global write */

s_cmpk_eq_u32 s[sgprBeta], 0x0                     // Beta == 0
s_cbranch_scc0 GW_Beta_179                         // Branch if Beta is not zero

s_and_b32 s32, 255, s[sgprSizeI]                   // s32 = s[sgprSizeI] % 256
s_add_u32 s33, -0x1, s[sgprNumWorkGroups0]         // 
s_cmp_ge_u32 s[sgprWorkGroup0], s33                // wg0 >= nwg0-1 ?
s_cselect_b32 s32, s32, 0                          // set rMT0
s_cmpk_gt_u32 s32, 0x0                             // rMT0 > 0
s_cbranch_scc1 GW_B0_E1_170                        // jump if edges required
s_and_b32 s32, 255, s[sgprSizeJ]                   // s32 = s[sgprSizeJ] % 256
s_add_u32 s33, -0x1, s[sgprNumWorkGroups1]         // 
s_cmp_ge_u32 s[sgprWorkGroup1], s33                // wg1 >= nwg1-1
s_cselect_b32 s32, s32, 0                          // set rMT1
s_cmpk_gt_u32 s32, 0x0                             // rMT1 > 0
s_cbranch_scc1 GW_B0_E1_170                        // jump if edges required
GW_B0_E0_167:

/* edge=0, allocate 2 sgpr. perBatchTmpS=2 perBatchMaskS=0 perElementMaskS=0 elementsPerBatch=8 */
/* optSingleColVgpr=1 optSharedColVgpr=0 optSGPRUsage=BufferLoad_Mask optSrdIncForRow=1 */

/******************************************/
/* Global Write Alpha Batch #0 (d1,d0,vc1,vc0) = */
/*    (0,0,0,0:vw4); (0,1,0,0:vw4); (0,2,0,0:vw4); (0,3,0,0:vw4); (0,4,0,0:vw4); (0,5,0,0:vw4); (0,6,0,0:vw4); (0,7,0,0:vw4) */
/******************************************/

/* calc coords, apply mask, and issue loads (if necessary) */
/* (d1,vc1,d0,vc0)=(0,0,0,0) */
/* (d1,vc1,d0,vc0)=(0,0,1,0) */
	;; [unrolled: 1-line block ×8, first 2 shown]
_v_add_lshl_u32 v9, v3, v0, 0x2                    // optSingleColVgpr scaleToBpe: sharedAddrVgpr <- cinRowPtr + coord0, scaled by BPE. BSHERE:coord0=0, coord0Vgpr=0
v_accvgpr_read_b32 v[vgprValuC+16], acc0 // copy acc to vreg[0]
v_accvgpr_read_b32 v[vgprValuC+17], acc1 // copy acc to vreg[1]
v_accvgpr_read_b32 v[vgprValuC+18], acc2 // copy acc to vreg[2]
v_accvgpr_read_b32 v[vgprValuC+19], acc3 // copy acc to vreg[3]
v_accvgpr_read_b32 v[vgprValuC+20], acc4 // copy acc to vreg[4]
v_accvgpr_read_b32 v[vgprValuC+21], acc5 // copy acc to vreg[5]
v_accvgpr_read_b32 v[vgprValuC+22], acc6 // copy acc to vreg[6]
v_accvgpr_read_b32 v[vgprValuC+23], acc7 // copy acc to vreg[7]
v_accvgpr_read_b32 v[vgprValuC+24], acc8 // copy acc to vreg[8]
v_accvgpr_read_b32 v[vgprValuC+25], acc9 // copy acc to vreg[9]
v_accvgpr_read_b32 v[vgprValuC+26], acc10 // copy acc to vreg[10]
v_accvgpr_read_b32 v[vgprValuC+27], acc11 // copy acc to vreg[11]
v_accvgpr_read_b32 v[vgprValuC+28], acc12 // copy acc to vreg[12]
v_accvgpr_read_b32 v[vgprValuC+29], acc13 // copy acc to vreg[13]
v_accvgpr_read_b32 v[vgprValuC+30], acc14 // copy acc to vreg[14]
v_accvgpr_read_b32 v[vgprValuC+31], acc15 // copy acc to vreg[15]
v_accvgpr_read_b32 v[vgprValuC+32], acc16 // copy acc to vreg[16]
v_accvgpr_read_b32 v[vgprValuC+33], acc17 // copy acc to vreg[17]
v_accvgpr_read_b32 v[vgprValuC+34], acc18 // copy acc to vreg[18]
v_accvgpr_read_b32 v[vgprValuC+35], acc19 // copy acc to vreg[19]
v_accvgpr_read_b32 v[vgprValuC+36], acc20 // copy acc to vreg[20]
v_accvgpr_read_b32 v[vgprValuC+37], acc21 // copy acc to vreg[21]
v_accvgpr_read_b32 v[vgprValuC+38], acc22 // copy acc to vreg[22]
v_accvgpr_read_b32 v[vgprValuC+39], acc23 // copy acc to vreg[23]
v_accvgpr_read_b32 v[vgprValuC+40], acc24 // copy acc to vreg[24]
v_accvgpr_read_b32 v[vgprValuC+41], acc25 // copy acc to vreg[25]
v_accvgpr_read_b32 v[vgprValuC+42], acc26 // copy acc to vreg[26]
v_accvgpr_read_b32 v[vgprValuC+43], acc27 // copy acc to vreg[27]
v_accvgpr_read_b32 v[vgprValuC+52], acc28 // copy acc to vreg[28]
v_accvgpr_read_b32 v[vgprValuC+53], acc29 // copy acc to vreg[29]
v_accvgpr_read_b32 v[vgprValuC+54], acc30 // copy acc to vreg[30]
v_accvgpr_read_b32 v[vgprValuC+55], acc31 // copy acc to vreg[31]
s_nop 1                                            // 2 wait states required before reading vgpr

/* rC *= alpha batchElements=[(0, 0, 0, 0), (0, 1, 0, 0), (0, 2, 0, 0), (0, 3, 0, 0), (0, 4, 0, 0), (0, 5, 0, 0), (0, 6, 0, 0), (0, 7, 0, 0)] */
v_mul_lo_u32 v[vgprValuC+16], s[sgprAlpha], v[vgprValuC+16] // *= alpha
v_mul_lo_u32 v[vgprValuC+17], s[sgprAlpha], v[vgprValuC+17] // *= alpha
v_mul_lo_u32 v[vgprValuC+18], s[sgprAlpha], v[vgprValuC+18] // *= alpha
v_mul_lo_u32 v[vgprValuC+19], s[sgprAlpha], v[vgprValuC+19] // *= alpha
v_mul_lo_u32 v[vgprValuC+20], s[sgprAlpha], v[vgprValuC+20] // *= alpha
v_mul_lo_u32 v[vgprValuC+21], s[sgprAlpha], v[vgprValuC+21] // *= alpha
v_mul_lo_u32 v[vgprValuC+22], s[sgprAlpha], v[vgprValuC+22] // *= alpha
v_mul_lo_u32 v[vgprValuC+23], s[sgprAlpha], v[vgprValuC+23] // *= alpha
v_mul_lo_u32 v[vgprValuC+24], s[sgprAlpha], v[vgprValuC+24] // *= alpha
v_mul_lo_u32 v[vgprValuC+25], s[sgprAlpha], v[vgprValuC+25] // *= alpha
v_mul_lo_u32 v[vgprValuC+26], s[sgprAlpha], v[vgprValuC+26] // *= alpha
v_mul_lo_u32 v[vgprValuC+27], s[sgprAlpha], v[vgprValuC+27] // *= alpha
v_mul_lo_u32 v[vgprValuC+28], s[sgprAlpha], v[vgprValuC+28] // *= alpha
v_mul_lo_u32 v[vgprValuC+29], s[sgprAlpha], v[vgprValuC+29] // *= alpha
v_mul_lo_u32 v[vgprValuC+30], s[sgprAlpha], v[vgprValuC+30] // *= alpha
v_mul_lo_u32 v[vgprValuC+31], s[sgprAlpha], v[vgprValuC+31] // *= alpha
v_mul_lo_u32 v[vgprValuC+32], s[sgprAlpha], v[vgprValuC+32] // *= alpha
v_mul_lo_u32 v[vgprValuC+33], s[sgprAlpha], v[vgprValuC+33] // *= alpha
v_mul_lo_u32 v[vgprValuC+34], s[sgprAlpha], v[vgprValuC+34] // *= alpha
v_mul_lo_u32 v[vgprValuC+35], s[sgprAlpha], v[vgprValuC+35] // *= alpha
v_mul_lo_u32 v[vgprValuC+36], s[sgprAlpha], v[vgprValuC+36] // *= alpha
v_mul_lo_u32 v[vgprValuC+37], s[sgprAlpha], v[vgprValuC+37] // *= alpha
v_mul_lo_u32 v[vgprValuC+38], s[sgprAlpha], v[vgprValuC+38] // *= alpha
v_mul_lo_u32 v[vgprValuC+39], s[sgprAlpha], v[vgprValuC+39] // *= alpha
v_mul_lo_u32 v[vgprValuC+40], s[sgprAlpha], v[vgprValuC+40] // *= alpha
v_mul_lo_u32 v[vgprValuC+41], s[sgprAlpha], v[vgprValuC+41] // *= alpha
v_mul_lo_u32 v[vgprValuC+42], s[sgprAlpha], v[vgprValuC+42] // *= alpha
v_mul_lo_u32 v[vgprValuC+43], s[sgprAlpha], v[vgprValuC+43] // *= alpha
v_mul_lo_u32 v[vgprValuC+52], s[sgprAlpha], v[vgprValuC+52] // *= alpha
v_mul_lo_u32 v[vgprValuC+53], s[sgprAlpha], v[vgprValuC+53] // *= alpha
v_mul_lo_u32 v[vgprValuC+54], s[sgprAlpha], v[vgprValuC+54] // *= alpha
v_mul_lo_u32 v[vgprValuC+55], s[sgprAlpha], v[vgprValuC+55] // *= alpha

/* apply mask, calc new C and issue writes */
_ds_store_b128 v7, v[16:19], offset:0              // storeRemap lw
_ds_store_b128 v7, v[20:23], offset:32             // storeRemap lw
_ds_store_b128 v7, v[24:27], offset:64             // storeRemap lw
	;; [unrolled: 1-line block ×3, first 2 shown]
_ds_store_b128 v7, v[32:35], offset:512            // storeRemap lw
_ds_store_b128 v7, v[36:39], offset:544            // storeRemap lw
	;; [unrolled: 1-line block ×4, first 2 shown]

/* Handle local read and global write */
s_waitcnt lgkmcnt(0)                               // wait for LDS write
s_barrier //wait all lds write finished

_ds_load_b128 v[16:19], v8, offset:0               // storeRemap lr
_ds_load_b128 v[20:23], v8, offset:1040            // storeRemap lr
_ds_load_b128 v[24:27], v8, offset:2080            // storeRemap lr
	;; [unrolled: 1-line block ×7, first 2 shown]

v_mov_b32 v13, v6                                  // coord1
v_mul_lo_u32 v13, v13, s[sgprStrideD1J]            // coord1 offset =  coord1 * StrideD
_v_add_lshl_u32 v13, v13, v4, 0x2                  // global write D address
s_waitcnt lgkmcnt(7)                               // wait for LDS read
_buffer_store_b128 v[16:19], v13, s[sgprSrdD:sgprSrdD+3], 0, offen, offset:0 // store D
_v_add_u32 v13, v6, 1                              // coord1 += nColPerLoad
v_mul_lo_u32 v13, v13, s[sgprStrideD1J]            // coord1 offset =  coord1 * StrideD
_v_add_lshl_u32 v13, v13, v4, 0x2                  // global write D address
s_waitcnt lgkmcnt(6)                               // wait for LDS read
_buffer_store_b128 v[20:23], v13, s[sgprSrdD:sgprSrdD+3], 0, offen, offset:0 // store D
_v_add_u32 v13, v6, 2                              // coord1 += nColPerLoad
	;; [unrolled: 5-line block ×7, first 2 shown]
v_mul_lo_u32 v13, v13, s[sgprStrideD1J]            // coord1 offset =  coord1 * StrideD
_v_add_lshl_u32 v13, v13, v4, 0x2                  // global write D address
s_waitcnt lgkmcnt(0)                               // wait for LDS read
_buffer_store_b128 v[52:55], v13, s[sgprSrdD:sgprSrdD+3], 0, offen, offset:0 // store D

s_barrier //wait all lds read finished
s_nop 0                                            // 1 wait state required when next inst writes vgprs held by previous dwordx4 store inst
/* optSingleColVgpr=1 optSharedColVgpr=0 optSGPRUsage=BufferLoad_Mask optSrdIncForRow=1 */

/******************************************/
/* Global Write Alpha Batch #1 (d1,d0,vc1,vc0) = */
/*    (1,0,0,0:vw4); (1,1,0,0:vw4); (1,2,0,0:vw4); (1,3,0,0:vw4); (1,4,0,0:vw4); (1,5,0,0:vw4); (1,6,0,0:vw4); (1,7,0,0:vw4) */
/******************************************/

/* calc coords, apply mask, and issue loads (if necessary) */
/* (d1,vc1,d0,vc0)=(1,0,0,0) */
/* (d1,vc1,d0,vc0)=(1,0,1,0) */
	;; [unrolled: 1-line block ×8, first 2 shown]
v_accvgpr_read_b32 v[vgprValuC+16], acc32 // copy acc to vreg[32]
v_accvgpr_read_b32 v[vgprValuC+17], acc33 // copy acc to vreg[33]
v_accvgpr_read_b32 v[vgprValuC+18], acc34 // copy acc to vreg[34]
v_accvgpr_read_b32 v[vgprValuC+19], acc35 // copy acc to vreg[35]
v_accvgpr_read_b32 v[vgprValuC+20], acc36 // copy acc to vreg[36]
v_accvgpr_read_b32 v[vgprValuC+21], acc37 // copy acc to vreg[37]
v_accvgpr_read_b32 v[vgprValuC+22], acc38 // copy acc to vreg[38]
v_accvgpr_read_b32 v[vgprValuC+23], acc39 // copy acc to vreg[39]
v_accvgpr_read_b32 v[vgprValuC+24], acc40 // copy acc to vreg[40]
v_accvgpr_read_b32 v[vgprValuC+25], acc41 // copy acc to vreg[41]
v_accvgpr_read_b32 v[vgprValuC+26], acc42 // copy acc to vreg[42]
v_accvgpr_read_b32 v[vgprValuC+27], acc43 // copy acc to vreg[43]
v_accvgpr_read_b32 v[vgprValuC+28], acc44 // copy acc to vreg[44]
v_accvgpr_read_b32 v[vgprValuC+29], acc45 // copy acc to vreg[45]
v_accvgpr_read_b32 v[vgprValuC+30], acc46 // copy acc to vreg[46]
v_accvgpr_read_b32 v[vgprValuC+31], acc47 // copy acc to vreg[47]
v_accvgpr_read_b32 v[vgprValuC+32], acc48 // copy acc to vreg[48]
v_accvgpr_read_b32 v[vgprValuC+33], acc49 // copy acc to vreg[49]
v_accvgpr_read_b32 v[vgprValuC+34], acc50 // copy acc to vreg[50]
v_accvgpr_read_b32 v[vgprValuC+35], acc51 // copy acc to vreg[51]
v_accvgpr_read_b32 v[vgprValuC+36], acc52 // copy acc to vreg[52]
v_accvgpr_read_b32 v[vgprValuC+37], acc53 // copy acc to vreg[53]
v_accvgpr_read_b32 v[vgprValuC+38], acc54 // copy acc to vreg[54]
v_accvgpr_read_b32 v[vgprValuC+39], acc55 // copy acc to vreg[55]
v_accvgpr_read_b32 v[vgprValuC+40], acc56 // copy acc to vreg[56]
v_accvgpr_read_b32 v[vgprValuC+41], acc57 // copy acc to vreg[57]
v_accvgpr_read_b32 v[vgprValuC+42], acc58 // copy acc to vreg[58]
v_accvgpr_read_b32 v[vgprValuC+43], acc59 // copy acc to vreg[59]
v_accvgpr_read_b32 v[vgprValuC+52], acc60 // copy acc to vreg[60]
v_accvgpr_read_b32 v[vgprValuC+53], acc61 // copy acc to vreg[61]
v_accvgpr_read_b32 v[vgprValuC+54], acc62 // copy acc to vreg[62]
v_accvgpr_read_b32 v[vgprValuC+55], acc63 // copy acc to vreg[63]
s_nop 1                                            // 2 wait states required before reading vgpr

/* rC *= alpha batchElements=[(1, 0, 0, 0), (1, 1, 0, 0), (1, 2, 0, 0), (1, 3, 0, 0), (1, 4, 0, 0), (1, 5, 0, 0), (1, 6, 0, 0), (1, 7, 0, 0)] */
v_mul_lo_u32 v[vgprValuC+16], s[sgprAlpha], v[vgprValuC+16] // *= alpha
v_mul_lo_u32 v[vgprValuC+17], s[sgprAlpha], v[vgprValuC+17] // *= alpha
	;; [unrolled: 1-line block ×32, first 2 shown]

/* apply mask, calc new C and issue writes */

/* StoreRemap: shift coord1 address */
s_mul_i32 s32, s[sgprStrideD1J], 128               // scale StrideD *= numRows(32) * bpe
s_add_u32  s[sgprSrdD+0], s[sgprSrdD+0], s32       // incToNextRow: gra SRD += inc(lower)
s_addc_u32  s[sgprSrdD+1], s[sgprSrdD+1], 0        // incToNextRow: gra SRD += inc(upper)
v_mov_b32 v10, 32                                  // set shift rows
_v_add_u32 v5, v5, v10                             // shift storeRemap coord1
_ds_store_b128 v7, v[16:19], offset:0              // storeRemap lw
_ds_store_b128 v7, v[20:23], offset:32             // storeRemap lw
_ds_store_b128 v7, v[24:27], offset:64             // storeRemap lw
	;; [unrolled: 1-line block ×3, first 2 shown]
_ds_store_b128 v7, v[32:35], offset:512            // storeRemap lw
_ds_store_b128 v7, v[36:39], offset:544            // storeRemap lw
	;; [unrolled: 1-line block ×4, first 2 shown]

/* Handle local read and global write */
s_waitcnt lgkmcnt(0)                               // wait for LDS write
s_barrier //wait all lds write finished

_ds_load_b128 v[16:19], v8, offset:0               // storeRemap lr
_ds_load_b128 v[20:23], v8, offset:1040            // storeRemap lr
_ds_load_b128 v[24:27], v8, offset:2080            // storeRemap lr
	;; [unrolled: 1-line block ×7, first 2 shown]

v_mov_b32 v13, v6                                  // coord1
v_mul_lo_u32 v13, v13, s[sgprStrideD1J]            // coord1 offset =  coord1 * StrideD
_v_add_lshl_u32 v13, v13, v4, 0x2                  // global write D address
s_waitcnt lgkmcnt(7)                               // wait for LDS read
_buffer_store_b128 v[16:19], v13, s[sgprSrdD:sgprSrdD+3], 0, offen, offset:0 // store D
_v_add_u32 v13, v6, 1                              // coord1 += nColPerLoad
v_mul_lo_u32 v13, v13, s[sgprStrideD1J]            // coord1 offset =  coord1 * StrideD
_v_add_lshl_u32 v13, v13, v4, 0x2                  // global write D address
s_waitcnt lgkmcnt(6)                               // wait for LDS read
_buffer_store_b128 v[20:23], v13, s[sgprSrdD:sgprSrdD+3], 0, offen, offset:0 // store D
_v_add_u32 v13, v6, 2                              // coord1 += nColPerLoad
	;; [unrolled: 5-line block ×7, first 2 shown]
v_mul_lo_u32 v13, v13, s[sgprStrideD1J]            // coord1 offset =  coord1 * StrideD
_v_add_lshl_u32 v13, v13, v4, 0x2                  // global write D address
s_waitcnt lgkmcnt(0)                               // wait for LDS read
_buffer_store_b128 v[52:55], v13, s[sgprSrdD:sgprSrdD+3], 0, offen, offset:0 // store D

s_barrier //wait all lds read finished
s_nop 0                                            // 1 wait state required when next inst writes vgprs held by previous dwordx4 store inst
/* optSingleColVgpr=1 optSharedColVgpr=0 optSGPRUsage=BufferLoad_Mask optSrdIncForRow=1 */

/******************************************/
/* Global Write Alpha Batch #2 (d1,d0,vc1,vc0) = */
/*    (2,0,0,0:vw4); (2,1,0,0:vw4); (2,2,0,0:vw4); (2,3,0,0:vw4); (2,4,0,0:vw4); (2,5,0,0:vw4); (2,6,0,0:vw4); (2,7,0,0:vw4) */
/******************************************/

/* calc coords, apply mask, and issue loads (if necessary) */
/* (d1,vc1,d0,vc0)=(2,0,0,0) */
/* (d1,vc1,d0,vc0)=(2,0,1,0) */
	;; [unrolled: 1-line block ×8, first 2 shown]
v_accvgpr_read_b32 v[vgprValuC+16], acc64 // copy acc to vreg[64]
v_accvgpr_read_b32 v[vgprValuC+17], acc65 // copy acc to vreg[65]
v_accvgpr_read_b32 v[vgprValuC+18], acc66 // copy acc to vreg[66]
v_accvgpr_read_b32 v[vgprValuC+19], acc67 // copy acc to vreg[67]
v_accvgpr_read_b32 v[vgprValuC+20], acc68 // copy acc to vreg[68]
v_accvgpr_read_b32 v[vgprValuC+21], acc69 // copy acc to vreg[69]
v_accvgpr_read_b32 v[vgprValuC+22], acc70 // copy acc to vreg[70]
v_accvgpr_read_b32 v[vgprValuC+23], acc71 // copy acc to vreg[71]
v_accvgpr_read_b32 v[vgprValuC+24], acc72 // copy acc to vreg[72]
v_accvgpr_read_b32 v[vgprValuC+25], acc73 // copy acc to vreg[73]
v_accvgpr_read_b32 v[vgprValuC+26], acc74 // copy acc to vreg[74]
v_accvgpr_read_b32 v[vgprValuC+27], acc75 // copy acc to vreg[75]
v_accvgpr_read_b32 v[vgprValuC+28], acc76 // copy acc to vreg[76]
v_accvgpr_read_b32 v[vgprValuC+29], acc77 // copy acc to vreg[77]
v_accvgpr_read_b32 v[vgprValuC+30], acc78 // copy acc to vreg[78]
v_accvgpr_read_b32 v[vgprValuC+31], acc79 // copy acc to vreg[79]
v_accvgpr_read_b32 v[vgprValuC+32], acc80 // copy acc to vreg[80]
v_accvgpr_read_b32 v[vgprValuC+33], acc81 // copy acc to vreg[81]
v_accvgpr_read_b32 v[vgprValuC+34], acc82 // copy acc to vreg[82]
v_accvgpr_read_b32 v[vgprValuC+35], acc83 // copy acc to vreg[83]
v_accvgpr_read_b32 v[vgprValuC+36], acc84 // copy acc to vreg[84]
v_accvgpr_read_b32 v[vgprValuC+37], acc85 // copy acc to vreg[85]
v_accvgpr_read_b32 v[vgprValuC+38], acc86 // copy acc to vreg[86]
v_accvgpr_read_b32 v[vgprValuC+39], acc87 // copy acc to vreg[87]
v_accvgpr_read_b32 v[vgprValuC+40], acc88 // copy acc to vreg[88]
v_accvgpr_read_b32 v[vgprValuC+41], acc89 // copy acc to vreg[89]
v_accvgpr_read_b32 v[vgprValuC+42], acc90 // copy acc to vreg[90]
v_accvgpr_read_b32 v[vgprValuC+43], acc91 // copy acc to vreg[91]
v_accvgpr_read_b32 v[vgprValuC+52], acc92 // copy acc to vreg[92]
v_accvgpr_read_b32 v[vgprValuC+53], acc93 // copy acc to vreg[93]
v_accvgpr_read_b32 v[vgprValuC+54], acc94 // copy acc to vreg[94]
v_accvgpr_read_b32 v[vgprValuC+55], acc95 // copy acc to vreg[95]
s_nop 1                                            // 2 wait states required before reading vgpr

/* rC *= alpha batchElements=[(2, 0, 0, 0), (2, 1, 0, 0), (2, 2, 0, 0), (2, 3, 0, 0), (2, 4, 0, 0), (2, 5, 0, 0), (2, 6, 0, 0), (2, 7, 0, 0)] */
v_mul_lo_u32 v[vgprValuC+16], s[sgprAlpha], v[vgprValuC+16] // *= alpha
v_mul_lo_u32 v[vgprValuC+17], s[sgprAlpha], v[vgprValuC+17] // *= alpha
	;; [unrolled: 1-line block ×32, first 2 shown]

/* apply mask, calc new C and issue writes */

/* StoreRemap: shift coord1 address */
s_mul_i32 s32, s[sgprStrideD1J], 128               // scale StrideD *= numRows(32) * bpe
s_add_u32  s[sgprSrdD+0], s[sgprSrdD+0], s32       // incToNextRow: gra SRD += inc(lower)
s_addc_u32  s[sgprSrdD+1], s[sgprSrdD+1], 0        // incToNextRow: gra SRD += inc(upper)
v_mov_b32 v10, 32                                  // set shift rows
_v_add_u32 v5, v5, v10                             // shift storeRemap coord1
_ds_store_b128 v7, v[16:19], offset:0              // storeRemap lw
_ds_store_b128 v7, v[20:23], offset:32             // storeRemap lw
_ds_store_b128 v7, v[24:27], offset:64             // storeRemap lw
	;; [unrolled: 1-line block ×3, first 2 shown]
_ds_store_b128 v7, v[32:35], offset:512            // storeRemap lw
_ds_store_b128 v7, v[36:39], offset:544            // storeRemap lw
	;; [unrolled: 1-line block ×4, first 2 shown]

/* Handle local read and global write */
s_waitcnt lgkmcnt(0)                               // wait for LDS write
s_barrier //wait all lds write finished

_ds_load_b128 v[16:19], v8, offset:0               // storeRemap lr
_ds_load_b128 v[20:23], v8, offset:1040            // storeRemap lr
_ds_load_b128 v[24:27], v8, offset:2080            // storeRemap lr
	;; [unrolled: 1-line block ×7, first 2 shown]

v_mov_b32 v13, v6                                  // coord1
v_mul_lo_u32 v13, v13, s[sgprStrideD1J]            // coord1 offset =  coord1 * StrideD
_v_add_lshl_u32 v13, v13, v4, 0x2                  // global write D address
s_waitcnt lgkmcnt(7)                               // wait for LDS read
_buffer_store_b128 v[16:19], v13, s[sgprSrdD:sgprSrdD+3], 0, offen, offset:0 // store D
_v_add_u32 v13, v6, 1                              // coord1 += nColPerLoad
v_mul_lo_u32 v13, v13, s[sgprStrideD1J]            // coord1 offset =  coord1 * StrideD
_v_add_lshl_u32 v13, v13, v4, 0x2                  // global write D address
s_waitcnt lgkmcnt(6)                               // wait for LDS read
_buffer_store_b128 v[20:23], v13, s[sgprSrdD:sgprSrdD+3], 0, offen, offset:0 // store D
_v_add_u32 v13, v6, 2                              // coord1 += nColPerLoad
	;; [unrolled: 5-line block ×7, first 2 shown]
v_mul_lo_u32 v13, v13, s[sgprStrideD1J]            // coord1 offset =  coord1 * StrideD
_v_add_lshl_u32 v13, v13, v4, 0x2                  // global write D address
s_waitcnt lgkmcnt(0)                               // wait for LDS read
_buffer_store_b128 v[52:55], v13, s[sgprSrdD:sgprSrdD+3], 0, offen, offset:0 // store D

s_barrier //wait all lds read finished
s_nop 0                                            // 1 wait state required when next inst writes vgprs held by previous dwordx4 store inst
/* optSingleColVgpr=1 optSharedColVgpr=0 optSGPRUsage=BufferLoad_Mask optSrdIncForRow=1 */

/******************************************/
/* Global Write Alpha Batch #3 (d1,d0,vc1,vc0) = */
/*    (3,0,0,0:vw4); (3,1,0,0:vw4); (3,2,0,0:vw4); (3,3,0,0:vw4); (3,4,0,0:vw4); (3,5,0,0:vw4); (3,6,0,0:vw4); (3,7,0,0:vw4) */
/******************************************/

/* calc coords, apply mask, and issue loads (if necessary) */
/* (d1,vc1,d0,vc0)=(3,0,0,0) */
/* (d1,vc1,d0,vc0)=(3,0,1,0) */
	;; [unrolled: 1-line block ×8, first 2 shown]
v_accvgpr_read_b32 v[vgprValuC+16], acc96 // copy acc to vreg[96]
v_accvgpr_read_b32 v[vgprValuC+17], acc97 // copy acc to vreg[97]
v_accvgpr_read_b32 v[vgprValuC+18], acc98 // copy acc to vreg[98]
v_accvgpr_read_b32 v[vgprValuC+19], acc99 // copy acc to vreg[99]
v_accvgpr_read_b32 v[vgprValuC+20], acc100 // copy acc to vreg[100]
v_accvgpr_read_b32 v[vgprValuC+21], acc101 // copy acc to vreg[101]
v_accvgpr_read_b32 v[vgprValuC+22], acc102 // copy acc to vreg[102]
v_accvgpr_read_b32 v[vgprValuC+23], acc103 // copy acc to vreg[103]
v_accvgpr_read_b32 v[vgprValuC+24], acc104 // copy acc to vreg[104]
v_accvgpr_read_b32 v[vgprValuC+25], acc105 // copy acc to vreg[105]
v_accvgpr_read_b32 v[vgprValuC+26], acc106 // copy acc to vreg[106]
v_accvgpr_read_b32 v[vgprValuC+27], acc107 // copy acc to vreg[107]
v_accvgpr_read_b32 v[vgprValuC+28], acc108 // copy acc to vreg[108]
v_accvgpr_read_b32 v[vgprValuC+29], acc109 // copy acc to vreg[109]
v_accvgpr_read_b32 v[vgprValuC+30], acc110 // copy acc to vreg[110]
v_accvgpr_read_b32 v[vgprValuC+31], acc111 // copy acc to vreg[111]
v_accvgpr_read_b32 v[vgprValuC+32], acc112 // copy acc to vreg[112]
v_accvgpr_read_b32 v[vgprValuC+33], acc113 // copy acc to vreg[113]
v_accvgpr_read_b32 v[vgprValuC+34], acc114 // copy acc to vreg[114]
v_accvgpr_read_b32 v[vgprValuC+35], acc115 // copy acc to vreg[115]
v_accvgpr_read_b32 v[vgprValuC+36], acc116 // copy acc to vreg[116]
v_accvgpr_read_b32 v[vgprValuC+37], acc117 // copy acc to vreg[117]
v_accvgpr_read_b32 v[vgprValuC+38], acc118 // copy acc to vreg[118]
v_accvgpr_read_b32 v[vgprValuC+39], acc119 // copy acc to vreg[119]
v_accvgpr_read_b32 v[vgprValuC+40], acc120 // copy acc to vreg[120]
v_accvgpr_read_b32 v[vgprValuC+41], acc121 // copy acc to vreg[121]
v_accvgpr_read_b32 v[vgprValuC+42], acc122 // copy acc to vreg[122]
v_accvgpr_read_b32 v[vgprValuC+43], acc123 // copy acc to vreg[123]
v_accvgpr_read_b32 v[vgprValuC+52], acc124 // copy acc to vreg[124]
v_accvgpr_read_b32 v[vgprValuC+53], acc125 // copy acc to vreg[125]
v_accvgpr_read_b32 v[vgprValuC+54], acc126 // copy acc to vreg[126]
v_accvgpr_read_b32 v[vgprValuC+55], acc127 // copy acc to vreg[127]
s_nop 1                                            // 2 wait states required before reading vgpr

/* rC *= alpha batchElements=[(3, 0, 0, 0), (3, 1, 0, 0), (3, 2, 0, 0), (3, 3, 0, 0), (3, 4, 0, 0), (3, 5, 0, 0), (3, 6, 0, 0), (3, 7, 0, 0)] */
v_mul_lo_u32 v[vgprValuC+16], s[sgprAlpha], v[vgprValuC+16] // *= alpha
v_mul_lo_u32 v[vgprValuC+17], s[sgprAlpha], v[vgprValuC+17] // *= alpha
	;; [unrolled: 1-line block ×32, first 2 shown]

/* apply mask, calc new C and issue writes */

/* StoreRemap: shift coord1 address */
s_mul_i32 s32, s[sgprStrideD1J], 128               // scale StrideD *= numRows(32) * bpe
s_add_u32  s[sgprSrdD+0], s[sgprSrdD+0], s32       // incToNextRow: gra SRD += inc(lower)
s_addc_u32  s[sgprSrdD+1], s[sgprSrdD+1], 0        // incToNextRow: gra SRD += inc(upper)
v_mov_b32 v10, 32                                  // set shift rows
_v_add_u32 v5, v5, v10                             // shift storeRemap coord1
_ds_store_b128 v7, v[16:19], offset:0              // storeRemap lw
_ds_store_b128 v7, v[20:23], offset:32             // storeRemap lw
_ds_store_b128 v7, v[24:27], offset:64             // storeRemap lw
	;; [unrolled: 1-line block ×3, first 2 shown]
_ds_store_b128 v7, v[32:35], offset:512            // storeRemap lw
_ds_store_b128 v7, v[36:39], offset:544            // storeRemap lw
	;; [unrolled: 1-line block ×4, first 2 shown]

/* Handle local read and global write */
s_waitcnt lgkmcnt(0)                               // wait for LDS write
s_barrier //wait all lds write finished

_ds_load_b128 v[16:19], v8, offset:0               // storeRemap lr
_ds_load_b128 v[20:23], v8, offset:1040            // storeRemap lr
_ds_load_b128 v[24:27], v8, offset:2080            // storeRemap lr
	;; [unrolled: 1-line block ×7, first 2 shown]

v_mov_b32 v13, v6                                  // coord1
v_mul_lo_u32 v13, v13, s[sgprStrideD1J]            // coord1 offset =  coord1 * StrideD
_v_add_lshl_u32 v13, v13, v4, 0x2                  // global write D address
s_waitcnt lgkmcnt(7)                               // wait for LDS read
_buffer_store_b128 v[16:19], v13, s[sgprSrdD:sgprSrdD+3], 0, offen, offset:0 // store D
_v_add_u32 v13, v6, 1                              // coord1 += nColPerLoad
v_mul_lo_u32 v13, v13, s[sgprStrideD1J]            // coord1 offset =  coord1 * StrideD
_v_add_lshl_u32 v13, v13, v4, 0x2                  // global write D address
s_waitcnt lgkmcnt(6)                               // wait for LDS read
_buffer_store_b128 v[20:23], v13, s[sgprSrdD:sgprSrdD+3], 0, offen, offset:0 // store D
_v_add_u32 v13, v6, 2                              // coord1 += nColPerLoad
	;; [unrolled: 5-line block ×7, first 2 shown]
v_mul_lo_u32 v13, v13, s[sgprStrideD1J]            // coord1 offset =  coord1 * StrideD
_v_add_lshl_u32 v13, v13, v4, 0x2                  // global write D address
s_waitcnt lgkmcnt(0)                               // wait for LDS read
_buffer_store_b128 v[52:55], v13, s[sgprSrdD:sgprSrdD+3], 0, offen, offset:0 // store D

s_barrier //wait all lds read finished
s_nop 0                                            // 1 wait state required when next inst writes vgprs held by previous dwordx4 store inst
/* optSingleColVgpr=1 optSharedColVgpr=0 optSGPRUsage=BufferLoad_Mask optSrdIncForRow=1 */

/******************************************/
/* Global Write Alpha Batch #4 (d1,d0,vc1,vc0) = */
/*    (4,0,0,0:vw4); (4,1,0,0:vw4); (4,2,0,0:vw4); (4,3,0,0:vw4); (4,4,0,0:vw4); (4,5,0,0:vw4); (4,6,0,0:vw4); (4,7,0,0:vw4) */
/******************************************/

/* calc coords, apply mask, and issue loads (if necessary) */
/* (d1,vc1,d0,vc0)=(4,0,0,0) */
/* (d1,vc1,d0,vc0)=(4,0,1,0) */
	;; [unrolled: 1-line block ×8, first 2 shown]
v_accvgpr_read_b32 v[vgprValuC+16], acc128 // copy acc to vreg[128]
v_accvgpr_read_b32 v[vgprValuC+17], acc129 // copy acc to vreg[129]
v_accvgpr_read_b32 v[vgprValuC+18], acc130 // copy acc to vreg[130]
v_accvgpr_read_b32 v[vgprValuC+19], acc131 // copy acc to vreg[131]
v_accvgpr_read_b32 v[vgprValuC+20], acc132 // copy acc to vreg[132]
v_accvgpr_read_b32 v[vgprValuC+21], acc133 // copy acc to vreg[133]
v_accvgpr_read_b32 v[vgprValuC+22], acc134 // copy acc to vreg[134]
v_accvgpr_read_b32 v[vgprValuC+23], acc135 // copy acc to vreg[135]
v_accvgpr_read_b32 v[vgprValuC+24], acc136 // copy acc to vreg[136]
v_accvgpr_read_b32 v[vgprValuC+25], acc137 // copy acc to vreg[137]
v_accvgpr_read_b32 v[vgprValuC+26], acc138 // copy acc to vreg[138]
v_accvgpr_read_b32 v[vgprValuC+27], acc139 // copy acc to vreg[139]
v_accvgpr_read_b32 v[vgprValuC+28], acc140 // copy acc to vreg[140]
v_accvgpr_read_b32 v[vgprValuC+29], acc141 // copy acc to vreg[141]
v_accvgpr_read_b32 v[vgprValuC+30], acc142 // copy acc to vreg[142]
v_accvgpr_read_b32 v[vgprValuC+31], acc143 // copy acc to vreg[143]
v_accvgpr_read_b32 v[vgprValuC+32], acc144 // copy acc to vreg[144]
v_accvgpr_read_b32 v[vgprValuC+33], acc145 // copy acc to vreg[145]
v_accvgpr_read_b32 v[vgprValuC+34], acc146 // copy acc to vreg[146]
v_accvgpr_read_b32 v[vgprValuC+35], acc147 // copy acc to vreg[147]
v_accvgpr_read_b32 v[vgprValuC+36], acc148 // copy acc to vreg[148]
v_accvgpr_read_b32 v[vgprValuC+37], acc149 // copy acc to vreg[149]
v_accvgpr_read_b32 v[vgprValuC+38], acc150 // copy acc to vreg[150]
v_accvgpr_read_b32 v[vgprValuC+39], acc151 // copy acc to vreg[151]
v_accvgpr_read_b32 v[vgprValuC+40], acc152 // copy acc to vreg[152]
v_accvgpr_read_b32 v[vgprValuC+41], acc153 // copy acc to vreg[153]
v_accvgpr_read_b32 v[vgprValuC+42], acc154 // copy acc to vreg[154]
v_accvgpr_read_b32 v[vgprValuC+43], acc155 // copy acc to vreg[155]
v_accvgpr_read_b32 v[vgprValuC+52], acc156 // copy acc to vreg[156]
v_accvgpr_read_b32 v[vgprValuC+53], acc157 // copy acc to vreg[157]
v_accvgpr_read_b32 v[vgprValuC+54], acc158 // copy acc to vreg[158]
v_accvgpr_read_b32 v[vgprValuC+55], acc159 // copy acc to vreg[159]
s_nop 1                                            // 2 wait states required before reading vgpr

/* rC *= alpha batchElements=[(4, 0, 0, 0), (4, 1, 0, 0), (4, 2, 0, 0), (4, 3, 0, 0), (4, 4, 0, 0), (4, 5, 0, 0), (4, 6, 0, 0), (4, 7, 0, 0)] */
v_mul_lo_u32 v[vgprValuC+16], s[sgprAlpha], v[vgprValuC+16] // *= alpha
v_mul_lo_u32 v[vgprValuC+17], s[sgprAlpha], v[vgprValuC+17] // *= alpha
	;; [unrolled: 1-line block ×32, first 2 shown]

/* apply mask, calc new C and issue writes */

/* StoreRemap: shift coord1 address */
s_mul_i32 s32, s[sgprStrideD1J], 128               // scale StrideD *= numRows(32) * bpe
s_add_u32  s[sgprSrdD+0], s[sgprSrdD+0], s32       // incToNextRow: gra SRD += inc(lower)
s_addc_u32  s[sgprSrdD+1], s[sgprSrdD+1], 0        // incToNextRow: gra SRD += inc(upper)
v_mov_b32 v10, 32                                  // set shift rows
_v_add_u32 v5, v5, v10                             // shift storeRemap coord1
_ds_store_b128 v7, v[16:19], offset:0              // storeRemap lw
_ds_store_b128 v7, v[20:23], offset:32             // storeRemap lw
_ds_store_b128 v7, v[24:27], offset:64             // storeRemap lw
	;; [unrolled: 1-line block ×3, first 2 shown]
_ds_store_b128 v7, v[32:35], offset:512            // storeRemap lw
_ds_store_b128 v7, v[36:39], offset:544            // storeRemap lw
	;; [unrolled: 1-line block ×4, first 2 shown]

/* Handle local read and global write */
s_waitcnt lgkmcnt(0)                               // wait for LDS write
s_barrier //wait all lds write finished

_ds_load_b128 v[16:19], v8, offset:0               // storeRemap lr
_ds_load_b128 v[20:23], v8, offset:1040            // storeRemap lr
_ds_load_b128 v[24:27], v8, offset:2080            // storeRemap lr
	;; [unrolled: 1-line block ×7, first 2 shown]

v_mov_b32 v13, v6                                  // coord1
v_mul_lo_u32 v13, v13, s[sgprStrideD1J]            // coord1 offset =  coord1 * StrideD
_v_add_lshl_u32 v13, v13, v4, 0x2                  // global write D address
s_waitcnt lgkmcnt(7)                               // wait for LDS read
_buffer_store_b128 v[16:19], v13, s[sgprSrdD:sgprSrdD+3], 0, offen, offset:0 // store D
_v_add_u32 v13, v6, 1                              // coord1 += nColPerLoad
v_mul_lo_u32 v13, v13, s[sgprStrideD1J]            // coord1 offset =  coord1 * StrideD
_v_add_lshl_u32 v13, v13, v4, 0x2                  // global write D address
s_waitcnt lgkmcnt(6)                               // wait for LDS read
_buffer_store_b128 v[20:23], v13, s[sgprSrdD:sgprSrdD+3], 0, offen, offset:0 // store D
_v_add_u32 v13, v6, 2                              // coord1 += nColPerLoad
	;; [unrolled: 5-line block ×7, first 2 shown]
v_mul_lo_u32 v13, v13, s[sgprStrideD1J]            // coord1 offset =  coord1 * StrideD
_v_add_lshl_u32 v13, v13, v4, 0x2                  // global write D address
s_waitcnt lgkmcnt(0)                               // wait for LDS read
_buffer_store_b128 v[52:55], v13, s[sgprSrdD:sgprSrdD+3], 0, offen, offset:0 // store D

s_barrier //wait all lds read finished
s_nop 0                                            // 1 wait state required when next inst writes vgprs held by previous dwordx4 store inst
/* optSingleColVgpr=1 optSharedColVgpr=0 optSGPRUsage=BufferLoad_Mask optSrdIncForRow=1 */

/******************************************/
/* Global Write Alpha Batch #5 (d1,d0,vc1,vc0) = */
/*    (5,0,0,0:vw4); (5,1,0,0:vw4); (5,2,0,0:vw4); (5,3,0,0:vw4); (5,4,0,0:vw4); (5,5,0,0:vw4); (5,6,0,0:vw4); (5,7,0,0:vw4) */
/******************************************/

/* calc coords, apply mask, and issue loads (if necessary) */
/* (d1,vc1,d0,vc0)=(5,0,0,0) */
/* (d1,vc1,d0,vc0)=(5,0,1,0) */
	;; [unrolled: 1-line block ×8, first 2 shown]
v_accvgpr_read_b32 v[vgprValuC+16], acc160 // copy acc to vreg[160]
v_accvgpr_read_b32 v[vgprValuC+17], acc161 // copy acc to vreg[161]
v_accvgpr_read_b32 v[vgprValuC+18], acc162 // copy acc to vreg[162]
v_accvgpr_read_b32 v[vgprValuC+19], acc163 // copy acc to vreg[163]
v_accvgpr_read_b32 v[vgprValuC+20], acc164 // copy acc to vreg[164]
v_accvgpr_read_b32 v[vgprValuC+21], acc165 // copy acc to vreg[165]
v_accvgpr_read_b32 v[vgprValuC+22], acc166 // copy acc to vreg[166]
v_accvgpr_read_b32 v[vgprValuC+23], acc167 // copy acc to vreg[167]
v_accvgpr_read_b32 v[vgprValuC+24], acc168 // copy acc to vreg[168]
v_accvgpr_read_b32 v[vgprValuC+25], acc169 // copy acc to vreg[169]
v_accvgpr_read_b32 v[vgprValuC+26], acc170 // copy acc to vreg[170]
v_accvgpr_read_b32 v[vgprValuC+27], acc171 // copy acc to vreg[171]
v_accvgpr_read_b32 v[vgprValuC+28], acc172 // copy acc to vreg[172]
v_accvgpr_read_b32 v[vgprValuC+29], acc173 // copy acc to vreg[173]
v_accvgpr_read_b32 v[vgprValuC+30], acc174 // copy acc to vreg[174]
v_accvgpr_read_b32 v[vgprValuC+31], acc175 // copy acc to vreg[175]
v_accvgpr_read_b32 v[vgprValuC+32], acc176 // copy acc to vreg[176]
v_accvgpr_read_b32 v[vgprValuC+33], acc177 // copy acc to vreg[177]
v_accvgpr_read_b32 v[vgprValuC+34], acc178 // copy acc to vreg[178]
v_accvgpr_read_b32 v[vgprValuC+35], acc179 // copy acc to vreg[179]
v_accvgpr_read_b32 v[vgprValuC+36], acc180 // copy acc to vreg[180]
v_accvgpr_read_b32 v[vgprValuC+37], acc181 // copy acc to vreg[181]
v_accvgpr_read_b32 v[vgprValuC+38], acc182 // copy acc to vreg[182]
v_accvgpr_read_b32 v[vgprValuC+39], acc183 // copy acc to vreg[183]
v_accvgpr_read_b32 v[vgprValuC+40], acc184 // copy acc to vreg[184]
v_accvgpr_read_b32 v[vgprValuC+41], acc185 // copy acc to vreg[185]
v_accvgpr_read_b32 v[vgprValuC+42], acc186 // copy acc to vreg[186]
v_accvgpr_read_b32 v[vgprValuC+43], acc187 // copy acc to vreg[187]
v_accvgpr_read_b32 v[vgprValuC+52], acc188 // copy acc to vreg[188]
v_accvgpr_read_b32 v[vgprValuC+53], acc189 // copy acc to vreg[189]
v_accvgpr_read_b32 v[vgprValuC+54], acc190 // copy acc to vreg[190]
v_accvgpr_read_b32 v[vgprValuC+55], acc191 // copy acc to vreg[191]
s_nop 1                                            // 2 wait states required before reading vgpr

/* rC *= alpha batchElements=[(5, 0, 0, 0), (5, 1, 0, 0), (5, 2, 0, 0), (5, 3, 0, 0), (5, 4, 0, 0), (5, 5, 0, 0), (5, 6, 0, 0), (5, 7, 0, 0)] */
v_mul_lo_u32 v[vgprValuC+16], s[sgprAlpha], v[vgprValuC+16] // *= alpha
v_mul_lo_u32 v[vgprValuC+17], s[sgprAlpha], v[vgprValuC+17] // *= alpha
	;; [unrolled: 1-line block ×32, first 2 shown]

/* apply mask, calc new C and issue writes */

/* StoreRemap: shift coord1 address */
s_mul_i32 s32, s[sgprStrideD1J], 128               // scale StrideD *= numRows(32) * bpe
s_add_u32  s[sgprSrdD+0], s[sgprSrdD+0], s32       // incToNextRow: gra SRD += inc(lower)
s_addc_u32  s[sgprSrdD+1], s[sgprSrdD+1], 0        // incToNextRow: gra SRD += inc(upper)
v_mov_b32 v10, 32                                  // set shift rows
_v_add_u32 v5, v5, v10                             // shift storeRemap coord1
_ds_store_b128 v7, v[16:19], offset:0              // storeRemap lw
_ds_store_b128 v7, v[20:23], offset:32             // storeRemap lw
_ds_store_b128 v7, v[24:27], offset:64             // storeRemap lw
	;; [unrolled: 1-line block ×3, first 2 shown]
_ds_store_b128 v7, v[32:35], offset:512            // storeRemap lw
_ds_store_b128 v7, v[36:39], offset:544            // storeRemap lw
	;; [unrolled: 1-line block ×4, first 2 shown]

/* Handle local read and global write */
s_waitcnt lgkmcnt(0)                               // wait for LDS write
s_barrier //wait all lds write finished

_ds_load_b128 v[16:19], v8, offset:0               // storeRemap lr
_ds_load_b128 v[20:23], v8, offset:1040            // storeRemap lr
_ds_load_b128 v[24:27], v8, offset:2080            // storeRemap lr
	;; [unrolled: 1-line block ×7, first 2 shown]

v_mov_b32 v13, v6                                  // coord1
v_mul_lo_u32 v13, v13, s[sgprStrideD1J]            // coord1 offset =  coord1 * StrideD
_v_add_lshl_u32 v13, v13, v4, 0x2                  // global write D address
s_waitcnt lgkmcnt(7)                               // wait for LDS read
_buffer_store_b128 v[16:19], v13, s[sgprSrdD:sgprSrdD+3], 0, offen, offset:0 // store D
_v_add_u32 v13, v6, 1                              // coord1 += nColPerLoad
v_mul_lo_u32 v13, v13, s[sgprStrideD1J]            // coord1 offset =  coord1 * StrideD
_v_add_lshl_u32 v13, v13, v4, 0x2                  // global write D address
s_waitcnt lgkmcnt(6)                               // wait for LDS read
_buffer_store_b128 v[20:23], v13, s[sgprSrdD:sgprSrdD+3], 0, offen, offset:0 // store D
_v_add_u32 v13, v6, 2                              // coord1 += nColPerLoad
v_mul_lo_u32 v13, v13, s[sgprStrideD1J]            // coord1 offset =  coord1 * StrideD
_v_add_lshl_u32 v13, v13, v4, 0x2                  // global write D address
s_waitcnt lgkmcnt(5)                               // wait for LDS read
_buffer_store_b128 v[24:27], v13, s[sgprSrdD:sgprSrdD+3], 0, offen, offset:0 // store D
_v_add_u32 v13, v6, 3                              // coord1 += nColPerLoad
v_mul_lo_u32 v13, v13, s[sgprStrideD1J]            // coord1 offset =  coord1 * StrideD
_v_add_lshl_u32 v13, v13, v4, 0x2                  // global write D address
s_waitcnt lgkmcnt(4)                               // wait for LDS read
_buffer_store_b128 v[28:31], v13, s[sgprSrdD:sgprSrdD+3], 0, offen, offset:0 // store D
_v_add_u32 v13, v6, 4                              // coord1 += nColPerLoad
v_mul_lo_u32 v13, v13, s[sgprStrideD1J]            // coord1 offset =  coord1 * StrideD
_v_add_lshl_u32 v13, v13, v4, 0x2                  // global write D address
s_waitcnt lgkmcnt(3)                               // wait for LDS read
_buffer_store_b128 v[32:35], v13, s[sgprSrdD:sgprSrdD+3], 0, offen, offset:0 // store D
_v_add_u32 v13, v6, 5                              // coord1 += nColPerLoad
v_mul_lo_u32 v13, v13, s[sgprStrideD1J]            // coord1 offset =  coord1 * StrideD
_v_add_lshl_u32 v13, v13, v4, 0x2                  // global write D address
s_waitcnt lgkmcnt(2)                               // wait for LDS read
_buffer_store_b128 v[36:39], v13, s[sgprSrdD:sgprSrdD+3], 0, offen, offset:0 // store D
_v_add_u32 v13, v6, 6                              // coord1 += nColPerLoad
v_mul_lo_u32 v13, v13, s[sgprStrideD1J]            // coord1 offset =  coord1 * StrideD
_v_add_lshl_u32 v13, v13, v4, 0x2                  // global write D address
s_waitcnt lgkmcnt(1)                               // wait for LDS read
_buffer_store_b128 v[40:43], v13, s[sgprSrdD:sgprSrdD+3], 0, offen, offset:0 // store D
_v_add_u32 v13, v6, 7                              // coord1 += nColPerLoad
v_mul_lo_u32 v13, v13, s[sgprStrideD1J]            // coord1 offset =  coord1 * StrideD
_v_add_lshl_u32 v13, v13, v4, 0x2                  // global write D address
s_waitcnt lgkmcnt(0)                               // wait for LDS read
_buffer_store_b128 v[52:55], v13, s[sgprSrdD:sgprSrdD+3], 0, offen, offset:0 // store D

s_barrier //wait all lds read finished
s_nop 0                                            // 1 wait state required when next inst writes vgprs held by previous dwordx4 store inst
/* optSingleColVgpr=1 optSharedColVgpr=0 optSGPRUsage=BufferLoad_Mask optSrdIncForRow=1 */

/******************************************/
/* Global Write Alpha Batch #6 (d1,d0,vc1,vc0) = */
/*    (6,0,0,0:vw4); (6,1,0,0:vw4); (6,2,0,0:vw4); (6,3,0,0:vw4); (6,4,0,0:vw4); (6,5,0,0:vw4); (6,6,0,0:vw4); (6,7,0,0:vw4) */
/******************************************/

/* calc coords, apply mask, and issue loads (if necessary) */
/* (d1,vc1,d0,vc0)=(6,0,0,0) */
/* (d1,vc1,d0,vc0)=(6,0,1,0) */
	;; [unrolled: 1-line block ×8, first 2 shown]
v_accvgpr_read_b32 v[vgprValuC+16], acc192 // copy acc to vreg[192]
v_accvgpr_read_b32 v[vgprValuC+17], acc193 // copy acc to vreg[193]
v_accvgpr_read_b32 v[vgprValuC+18], acc194 // copy acc to vreg[194]
v_accvgpr_read_b32 v[vgprValuC+19], acc195 // copy acc to vreg[195]
v_accvgpr_read_b32 v[vgprValuC+20], acc196 // copy acc to vreg[196]
v_accvgpr_read_b32 v[vgprValuC+21], acc197 // copy acc to vreg[197]
v_accvgpr_read_b32 v[vgprValuC+22], acc198 // copy acc to vreg[198]
v_accvgpr_read_b32 v[vgprValuC+23], acc199 // copy acc to vreg[199]
v_accvgpr_read_b32 v[vgprValuC+24], acc200 // copy acc to vreg[200]
v_accvgpr_read_b32 v[vgprValuC+25], acc201 // copy acc to vreg[201]
v_accvgpr_read_b32 v[vgprValuC+26], acc202 // copy acc to vreg[202]
v_accvgpr_read_b32 v[vgprValuC+27], acc203 // copy acc to vreg[203]
v_accvgpr_read_b32 v[vgprValuC+28], acc204 // copy acc to vreg[204]
v_accvgpr_read_b32 v[vgprValuC+29], acc205 // copy acc to vreg[205]
v_accvgpr_read_b32 v[vgprValuC+30], acc206 // copy acc to vreg[206]
v_accvgpr_read_b32 v[vgprValuC+31], acc207 // copy acc to vreg[207]
v_accvgpr_read_b32 v[vgprValuC+32], acc208 // copy acc to vreg[208]
v_accvgpr_read_b32 v[vgprValuC+33], acc209 // copy acc to vreg[209]
v_accvgpr_read_b32 v[vgprValuC+34], acc210 // copy acc to vreg[210]
v_accvgpr_read_b32 v[vgprValuC+35], acc211 // copy acc to vreg[211]
v_accvgpr_read_b32 v[vgprValuC+36], acc212 // copy acc to vreg[212]
v_accvgpr_read_b32 v[vgprValuC+37], acc213 // copy acc to vreg[213]
v_accvgpr_read_b32 v[vgprValuC+38], acc214 // copy acc to vreg[214]
v_accvgpr_read_b32 v[vgprValuC+39], acc215 // copy acc to vreg[215]
v_accvgpr_read_b32 v[vgprValuC+40], acc216 // copy acc to vreg[216]
v_accvgpr_read_b32 v[vgprValuC+41], acc217 // copy acc to vreg[217]
v_accvgpr_read_b32 v[vgprValuC+42], acc218 // copy acc to vreg[218]
v_accvgpr_read_b32 v[vgprValuC+43], acc219 // copy acc to vreg[219]
v_accvgpr_read_b32 v[vgprValuC+52], acc220 // copy acc to vreg[220]
v_accvgpr_read_b32 v[vgprValuC+53], acc221 // copy acc to vreg[221]
v_accvgpr_read_b32 v[vgprValuC+54], acc222 // copy acc to vreg[222]
v_accvgpr_read_b32 v[vgprValuC+55], acc223 // copy acc to vreg[223]
s_nop 1                                            // 2 wait states required before reading vgpr

/* rC *= alpha batchElements=[(6, 0, 0, 0), (6, 1, 0, 0), (6, 2, 0, 0), (6, 3, 0, 0), (6, 4, 0, 0), (6, 5, 0, 0), (6, 6, 0, 0), (6, 7, 0, 0)] */
v_mul_lo_u32 v[vgprValuC+16], s[sgprAlpha], v[vgprValuC+16] // *= alpha
v_mul_lo_u32 v[vgprValuC+17], s[sgprAlpha], v[vgprValuC+17] // *= alpha
	;; [unrolled: 1-line block ×32, first 2 shown]

/* apply mask, calc new C and issue writes */

/* StoreRemap: shift coord1 address */
s_mul_i32 s32, s[sgprStrideD1J], 128               // scale StrideD *= numRows(32) * bpe
s_add_u32  s[sgprSrdD+0], s[sgprSrdD+0], s32       // incToNextRow: gra SRD += inc(lower)
s_addc_u32  s[sgprSrdD+1], s[sgprSrdD+1], 0        // incToNextRow: gra SRD += inc(upper)
v_mov_b32 v10, 32                                  // set shift rows
_v_add_u32 v5, v5, v10                             // shift storeRemap coord1
_ds_store_b128 v7, v[16:19], offset:0              // storeRemap lw
_ds_store_b128 v7, v[20:23], offset:32             // storeRemap lw
_ds_store_b128 v7, v[24:27], offset:64             // storeRemap lw
	;; [unrolled: 1-line block ×3, first 2 shown]
_ds_store_b128 v7, v[32:35], offset:512            // storeRemap lw
_ds_store_b128 v7, v[36:39], offset:544            // storeRemap lw
	;; [unrolled: 1-line block ×4, first 2 shown]

/* Handle local read and global write */
s_waitcnt lgkmcnt(0)                               // wait for LDS write
s_barrier //wait all lds write finished

_ds_load_b128 v[16:19], v8, offset:0               // storeRemap lr
_ds_load_b128 v[20:23], v8, offset:1040            // storeRemap lr
_ds_load_b128 v[24:27], v8, offset:2080            // storeRemap lr
	;; [unrolled: 1-line block ×7, first 2 shown]

v_mov_b32 v13, v6                                  // coord1
v_mul_lo_u32 v13, v13, s[sgprStrideD1J]            // coord1 offset =  coord1 * StrideD
_v_add_lshl_u32 v13, v13, v4, 0x2                  // global write D address
s_waitcnt lgkmcnt(7)                               // wait for LDS read
_buffer_store_b128 v[16:19], v13, s[sgprSrdD:sgprSrdD+3], 0, offen, offset:0 // store D
_v_add_u32 v13, v6, 1                              // coord1 += nColPerLoad
v_mul_lo_u32 v13, v13, s[sgprStrideD1J]            // coord1 offset =  coord1 * StrideD
_v_add_lshl_u32 v13, v13, v4, 0x2                  // global write D address
s_waitcnt lgkmcnt(6)                               // wait for LDS read
_buffer_store_b128 v[20:23], v13, s[sgprSrdD:sgprSrdD+3], 0, offen, offset:0 // store D
_v_add_u32 v13, v6, 2                              // coord1 += nColPerLoad
	;; [unrolled: 5-line block ×7, first 2 shown]
v_mul_lo_u32 v13, v13, s[sgprStrideD1J]            // coord1 offset =  coord1 * StrideD
_v_add_lshl_u32 v13, v13, v4, 0x2                  // global write D address
s_waitcnt lgkmcnt(0)                               // wait for LDS read
_buffer_store_b128 v[52:55], v13, s[sgprSrdD:sgprSrdD+3], 0, offen, offset:0 // store D

s_barrier //wait all lds read finished
s_nop 0                                            // 1 wait state required when next inst writes vgprs held by previous dwordx4 store inst
/* optSingleColVgpr=1 optSharedColVgpr=0 optSGPRUsage=BufferLoad_Mask optSrdIncForRow=1 */

/******************************************/
/* Global Write Alpha Batch #7 (d1,d0,vc1,vc0) = */
/*    (7,0,0,0:vw4); (7,1,0,0:vw4); (7,2,0,0:vw4); (7,3,0,0:vw4); (7,4,0,0:vw4); (7,5,0,0:vw4); (7,6,0,0:vw4); (7,7,0,0:vw4) */
/******************************************/

/* calc coords, apply mask, and issue loads (if necessary) */
/* (d1,vc1,d0,vc0)=(7,0,0,0) */
/* (d1,vc1,d0,vc0)=(7,0,1,0) */
	;; [unrolled: 1-line block ×8, first 2 shown]
v_accvgpr_read_b32 v[vgprValuC+16], acc224 // copy acc to vreg[224]
v_accvgpr_read_b32 v[vgprValuC+17], acc225 // copy acc to vreg[225]
v_accvgpr_read_b32 v[vgprValuC+18], acc226 // copy acc to vreg[226]
v_accvgpr_read_b32 v[vgprValuC+19], acc227 // copy acc to vreg[227]
v_accvgpr_read_b32 v[vgprValuC+20], acc228 // copy acc to vreg[228]
v_accvgpr_read_b32 v[vgprValuC+21], acc229 // copy acc to vreg[229]
v_accvgpr_read_b32 v[vgprValuC+22], acc230 // copy acc to vreg[230]
v_accvgpr_read_b32 v[vgprValuC+23], acc231 // copy acc to vreg[231]
v_accvgpr_read_b32 v[vgprValuC+24], acc232 // copy acc to vreg[232]
v_accvgpr_read_b32 v[vgprValuC+25], acc233 // copy acc to vreg[233]
v_accvgpr_read_b32 v[vgprValuC+26], acc234 // copy acc to vreg[234]
v_accvgpr_read_b32 v[vgprValuC+27], acc235 // copy acc to vreg[235]
v_accvgpr_read_b32 v[vgprValuC+28], acc236 // copy acc to vreg[236]
v_accvgpr_read_b32 v[vgprValuC+29], acc237 // copy acc to vreg[237]
v_accvgpr_read_b32 v[vgprValuC+30], acc238 // copy acc to vreg[238]
v_accvgpr_read_b32 v[vgprValuC+31], acc239 // copy acc to vreg[239]
v_accvgpr_read_b32 v[vgprValuC+32], acc240 // copy acc to vreg[240]
v_accvgpr_read_b32 v[vgprValuC+33], acc241 // copy acc to vreg[241]
v_accvgpr_read_b32 v[vgprValuC+34], acc242 // copy acc to vreg[242]
v_accvgpr_read_b32 v[vgprValuC+35], acc243 // copy acc to vreg[243]
v_accvgpr_read_b32 v[vgprValuC+36], acc244 // copy acc to vreg[244]
v_accvgpr_read_b32 v[vgprValuC+37], acc245 // copy acc to vreg[245]
v_accvgpr_read_b32 v[vgprValuC+38], acc246 // copy acc to vreg[246]
v_accvgpr_read_b32 v[vgprValuC+39], acc247 // copy acc to vreg[247]
v_accvgpr_read_b32 v[vgprValuC+40], acc248 // copy acc to vreg[248]
v_accvgpr_read_b32 v[vgprValuC+41], acc249 // copy acc to vreg[249]
v_accvgpr_read_b32 v[vgprValuC+42], acc250 // copy acc to vreg[250]
v_accvgpr_read_b32 v[vgprValuC+43], acc251 // copy acc to vreg[251]
v_accvgpr_read_b32 v[vgprValuC+52], acc252 // copy acc to vreg[252]
v_accvgpr_read_b32 v[vgprValuC+53], acc253 // copy acc to vreg[253]
v_accvgpr_read_b32 v[vgprValuC+54], acc254 // copy acc to vreg[254]
v_accvgpr_read_b32 v[vgprValuC+55], acc255 // copy acc to vreg[255]
s_nop 1                                            // 2 wait states required before reading vgpr

/* rC *= alpha batchElements=[(7, 0, 0, 0), (7, 1, 0, 0), (7, 2, 0, 0), (7, 3, 0, 0), (7, 4, 0, 0), (7, 5, 0, 0), (7, 6, 0, 0), (7, 7, 0, 0)] */
v_mul_lo_u32 v[vgprValuC+16], s[sgprAlpha], v[vgprValuC+16] // *= alpha
v_mul_lo_u32 v[vgprValuC+17], s[sgprAlpha], v[vgprValuC+17] // *= alpha
v_mul_lo_u32 v[vgprValuC+18], s[sgprAlpha], v[vgprValuC+18] // *= alpha
v_mul_lo_u32 v[vgprValuC+19], s[sgprAlpha], v[vgprValuC+19] // *= alpha
v_mul_lo_u32 v[vgprValuC+20], s[sgprAlpha], v[vgprValuC+20] // *= alpha
v_mul_lo_u32 v[vgprValuC+21], s[sgprAlpha], v[vgprValuC+21] // *= alpha
v_mul_lo_u32 v[vgprValuC+22], s[sgprAlpha], v[vgprValuC+22] // *= alpha
v_mul_lo_u32 v[vgprValuC+23], s[sgprAlpha], v[vgprValuC+23] // *= alpha
v_mul_lo_u32 v[vgprValuC+24], s[sgprAlpha], v[vgprValuC+24] // *= alpha
v_mul_lo_u32 v[vgprValuC+25], s[sgprAlpha], v[vgprValuC+25] // *= alpha
v_mul_lo_u32 v[vgprValuC+26], s[sgprAlpha], v[vgprValuC+26] // *= alpha
v_mul_lo_u32 v[vgprValuC+27], s[sgprAlpha], v[vgprValuC+27] // *= alpha
v_mul_lo_u32 v[vgprValuC+28], s[sgprAlpha], v[vgprValuC+28] // *= alpha
v_mul_lo_u32 v[vgprValuC+29], s[sgprAlpha], v[vgprValuC+29] // *= alpha
v_mul_lo_u32 v[vgprValuC+30], s[sgprAlpha], v[vgprValuC+30] // *= alpha
v_mul_lo_u32 v[vgprValuC+31], s[sgprAlpha], v[vgprValuC+31] // *= alpha
v_mul_lo_u32 v[vgprValuC+32], s[sgprAlpha], v[vgprValuC+32] // *= alpha
v_mul_lo_u32 v[vgprValuC+33], s[sgprAlpha], v[vgprValuC+33] // *= alpha
v_mul_lo_u32 v[vgprValuC+34], s[sgprAlpha], v[vgprValuC+34] // *= alpha
v_mul_lo_u32 v[vgprValuC+35], s[sgprAlpha], v[vgprValuC+35] // *= alpha
v_mul_lo_u32 v[vgprValuC+36], s[sgprAlpha], v[vgprValuC+36] // *= alpha
v_mul_lo_u32 v[vgprValuC+37], s[sgprAlpha], v[vgprValuC+37] // *= alpha
v_mul_lo_u32 v[vgprValuC+38], s[sgprAlpha], v[vgprValuC+38] // *= alpha
v_mul_lo_u32 v[vgprValuC+39], s[sgprAlpha], v[vgprValuC+39] // *= alpha
v_mul_lo_u32 v[vgprValuC+40], s[sgprAlpha], v[vgprValuC+40] // *= alpha
v_mul_lo_u32 v[vgprValuC+41], s[sgprAlpha], v[vgprValuC+41] // *= alpha
v_mul_lo_u32 v[vgprValuC+42], s[sgprAlpha], v[vgprValuC+42] // *= alpha
v_mul_lo_u32 v[vgprValuC+43], s[sgprAlpha], v[vgprValuC+43] // *= alpha
v_mul_lo_u32 v[vgprValuC+52], s[sgprAlpha], v[vgprValuC+52] // *= alpha
v_mul_lo_u32 v[vgprValuC+53], s[sgprAlpha], v[vgprValuC+53] // *= alpha
v_mul_lo_u32 v[vgprValuC+54], s[sgprAlpha], v[vgprValuC+54] // *= alpha
v_mul_lo_u32 v[vgprValuC+55], s[sgprAlpha], v[vgprValuC+55] // *= alpha

/* apply mask, calc new C and issue writes */

/* StoreRemap: shift coord1 address */
s_mul_i32 s32, s[sgprStrideD1J], 128               // scale StrideD *= numRows(32) * bpe
s_add_u32  s[sgprSrdD+0], s[sgprSrdD+0], s32       // incToNextRow: gra SRD += inc(lower)
s_addc_u32  s[sgprSrdD+1], s[sgprSrdD+1], 0        // incToNextRow: gra SRD += inc(upper)
v_mov_b32 v10, 32                                  // set shift rows
_v_add_u32 v5, v5, v10                             // shift storeRemap coord1
_ds_store_b128 v7, v[16:19], offset:0              // storeRemap lw
_ds_store_b128 v7, v[20:23], offset:32             // storeRemap lw
_ds_store_b128 v7, v[24:27], offset:64             // storeRemap lw
	;; [unrolled: 1-line block ×3, first 2 shown]
_ds_store_b128 v7, v[32:35], offset:512            // storeRemap lw
_ds_store_b128 v7, v[36:39], offset:544            // storeRemap lw
	;; [unrolled: 1-line block ×4, first 2 shown]

/* Handle local read and global write */
s_waitcnt lgkmcnt(0)                               // wait for LDS write
s_barrier //wait all lds write finished

_ds_load_b128 v[16:19], v8, offset:0               // storeRemap lr
_ds_load_b128 v[20:23], v8, offset:1040            // storeRemap lr
_ds_load_b128 v[24:27], v8, offset:2080            // storeRemap lr
	;; [unrolled: 1-line block ×7, first 2 shown]

v_mov_b32 v13, v6                                  // coord1
v_mul_lo_u32 v13, v13, s[sgprStrideD1J]            // coord1 offset =  coord1 * StrideD
_v_add_lshl_u32 v13, v13, v4, 0x2                  // global write D address
s_waitcnt lgkmcnt(7)                               // wait for LDS read
_buffer_store_b128 v[16:19], v13, s[sgprSrdD:sgprSrdD+3], 0, offen, offset:0 // store D
_v_add_u32 v13, v6, 1                              // coord1 += nColPerLoad
v_mul_lo_u32 v13, v13, s[sgprStrideD1J]            // coord1 offset =  coord1 * StrideD
_v_add_lshl_u32 v13, v13, v4, 0x2                  // global write D address
s_waitcnt lgkmcnt(6)                               // wait for LDS read
_buffer_store_b128 v[20:23], v13, s[sgprSrdD:sgprSrdD+3], 0, offen, offset:0 // store D
_v_add_u32 v13, v6, 2                              // coord1 += nColPerLoad
	;; [unrolled: 5-line block ×7, first 2 shown]
v_mul_lo_u32 v13, v13, s[sgprStrideD1J]            // coord1 offset =  coord1 * StrideD
_v_add_lshl_u32 v13, v13, v4, 0x2                  // global write D address
s_waitcnt lgkmcnt(0)                               // wait for LDS read
_buffer_store_b128 v[52:55], v13, s[sgprSrdD:sgprSrdD+3], 0, offen, offset:0 // store D

s_barrier //wait all lds read finished
s_nop 0                                            // 1 wait state required when next inst writes vgprs held by previous dwordx4 store inst
s_branch label_GW_End_178                          // jump to end
GW_B0_E1_170:

/* edge=0, allocate 6 sgpr. perBatchTmpS=4 perBatchMaskS=2 perElementMaskS=0 elementsPerBatch=8 */
/* optSingleColVgpr=0 optSharedColVgpr=0 optSGPRUsage=BufferLoad_Edge_Mask optSrdIncForRow=1 */

/******************************************/
/* Global Write Alpha Edge Batch #0 (d1,d0,vc1,vc0) = */
/*    (0,0,0,0:vw4); (0,1,0,0:vw4); (0,2,0,0:vw4); (0,3,0,0:vw4); (0,4,0,0:vw4); (0,5,0,0:vw4); (0,6,0,0:vw4); (0,7,0,0:vw4) */
/******************************************/

/* calc coords, apply mask, and issue loads (if necessary) */
/* (d1,vc1,d0,vc0)=(0,0,0,0) */
_v_add_lshl_u32 v9, v3, v0, 0x2                    // scaleToBpe: accumulate d0 lower and *= bpe into Cin addr
/* (d1,vc1,d0,vc0)=(0,0,1,0) */
_v_add_co_u32 v10, vcc, v0, 8                      // coord0.1: coord0 += d0*sg0*VW + vc0
_v_add_lshl_u32 v16, v3, v10, 0x2                  // scaleToBpe: accumulate d0 lower and *= bpe into Cin addr
/* (d1,vc1,d0,vc0)=(0,0,2,0) */
_v_add_co_u32 v10, vcc, v0, 16                     // coord0.1: coord0 += d0*sg0*VW + vc0
_v_add_lshl_u32 v17, v3, v10, 0x2                  // scaleToBpe: accumulate d0 lower and *= bpe into Cin addr
/* (d1,vc1,d0,vc0)=(0,0,3,0) */
_v_add_co_u32 v10, vcc, v0, 24                     // coord0.1: coord0 += d0*sg0*VW + vc0
_v_add_lshl_u32 v18, v3, v10, 0x2                  // scaleToBpe: accumulate d0 lower and *= bpe into Cin addr
/* (d1,vc1,d0,vc0)=(0,0,4,0) */
s_mov_b32 s52, 128                                 // coordOffset0 d0=4 vc0=0
_v_add_co_u32 v10, vcc, v0, s52                    // coord0.2: coord0 += d0*sg0*VW + vc0
_v_add_lshl_u32 v19, v3, v10, 0x2                  // scaleToBpe: accumulate d0 lower and *= bpe into Cin addr
/* (d1,vc1,d0,vc0)=(0,0,5,0) */
s_mov_b32 s52, 136                                 // coordOffset0 d0=5 vc0=0
_v_add_co_u32 v10, vcc, v0, s52                    // coord0.2: coord0 += d0*sg0*VW + vc0
	;; [unrolled: 4-line block ×4, first 2 shown]
_v_add_lshl_u32 v38, v3, v10, 0x2                  // scaleToBpe: accumulate d0 lower and *= bpe into Cin addr
v_accvgpr_read_b32 v[vgprValuC+12], acc0 // copy acc to vreg[0]
v_accvgpr_read_b32 v[vgprValuC+13], acc1 // copy acc to vreg[1]
v_accvgpr_read_b32 v[vgprValuC+14], acc2 // copy acc to vreg[2]
v_accvgpr_read_b32 v[vgprValuC+15], acc3 // copy acc to vreg[3]
v_accvgpr_read_b32 v[vgprValuC+20], acc4 // copy acc to vreg[4]
v_accvgpr_read_b32 v[vgprValuC+21], acc5 // copy acc to vreg[5]
v_accvgpr_read_b32 v[vgprValuC+22], acc6 // copy acc to vreg[6]
v_accvgpr_read_b32 v[vgprValuC+23], acc7 // copy acc to vreg[7]
v_accvgpr_read_b32 v[vgprValuC+24], acc8 // copy acc to vreg[8]
v_accvgpr_read_b32 v[vgprValuC+25], acc9 // copy acc to vreg[9]
v_accvgpr_read_b32 v[vgprValuC+26], acc10 // copy acc to vreg[10]
v_accvgpr_read_b32 v[vgprValuC+27], acc11 // copy acc to vreg[11]
v_accvgpr_read_b32 v[vgprValuC+28], acc12 // copy acc to vreg[12]
v_accvgpr_read_b32 v[vgprValuC+29], acc13 // copy acc to vreg[13]
v_accvgpr_read_b32 v[vgprValuC+30], acc14 // copy acc to vreg[14]
v_accvgpr_read_b32 v[vgprValuC+31], acc15 // copy acc to vreg[15]
v_accvgpr_read_b32 v[vgprValuC+32], acc16 // copy acc to vreg[16]
v_accvgpr_read_b32 v[vgprValuC+33], acc17 // copy acc to vreg[17]
v_accvgpr_read_b32 v[vgprValuC+34], acc18 // copy acc to vreg[18]
v_accvgpr_read_b32 v[vgprValuC+35], acc19 // copy acc to vreg[19]
v_accvgpr_read_b32 v[vgprValuC+40], acc20 // copy acc to vreg[20]
v_accvgpr_read_b32 v[vgprValuC+41], acc21 // copy acc to vreg[21]
v_accvgpr_read_b32 v[vgprValuC+42], acc22 // copy acc to vreg[22]
v_accvgpr_read_b32 v[vgprValuC+43], acc23 // copy acc to vreg[23]
v_accvgpr_read_b32 v[vgprValuC+52], acc24 // copy acc to vreg[24]
v_accvgpr_read_b32 v[vgprValuC+53], acc25 // copy acc to vreg[25]
v_accvgpr_read_b32 v[vgprValuC+54], acc26 // copy acc to vreg[26]
v_accvgpr_read_b32 v[vgprValuC+55], acc27 // copy acc to vreg[27]
v_accvgpr_read_b32 v[vgprValuC+56], acc28 // copy acc to vreg[28]
v_accvgpr_read_b32 v[vgprValuC+57], acc29 // copy acc to vreg[29]
v_accvgpr_read_b32 v[vgprValuC+58], acc30 // copy acc to vreg[30]
v_accvgpr_read_b32 v[vgprValuC+59], acc31 // copy acc to vreg[31]
s_nop 1                                            // 2 wait states required before reading vgpr

/* rC *= alpha batchElements=[(0, 0, 0, 0), (0, 1, 0, 0), (0, 2, 0, 0), (0, 3, 0, 0), (0, 4, 0, 0), (0, 5, 0, 0), (0, 6, 0, 0), (0, 7, 0, 0)] */
v_mul_lo_u32 v[vgprValuC+12], s[sgprAlpha], v[vgprValuC+12] // *= alpha
v_mul_lo_u32 v[vgprValuC+13], s[sgprAlpha], v[vgprValuC+13] // *= alpha
	;; [unrolled: 1-line block ×32, first 2 shown]

/* apply mask, calc new C and issue writes */
_ds_store_b128 v7, v[12:15], offset:0              // storeRemap lw
_ds_store_b128 v7, v[20:23], offset:32             // storeRemap lw
_ds_store_b128 v7, v[24:27], offset:64             // storeRemap lw
	;; [unrolled: 1-line block ×3, first 2 shown]
_ds_store_b128 v7, v[32:35], offset:512            // storeRemap lw
_ds_store_b128 v7, v[40:43], offset:544            // storeRemap lw
	;; [unrolled: 1-line block ×4, first 2 shown]

/* Handle local read and global write */
s_waitcnt lgkmcnt(0)                               // wait for LDS write
s_barrier //wait all lds write finished

_ds_load_b128 v[12:15], v8, offset:0               // storeRemap lr
_ds_load_b128 v[16:19], v8, offset:1040            // storeRemap lr
_ds_load_b128 v[20:23], v8, offset:2080            // storeRemap lr
	;; [unrolled: 1-line block ×7, first 2 shown]

s_waitcnt lgkmcnt(7)                               // wait for LDS read
_v_add_u32 v11, v5, 0                              // coord1 += nColPerLoad
_v_add_u32 v10, v4, 0                              // coord0 += element index of load vector
_v_add_u32 v9, v6, 0                               // offset coord1 += nColPerLoad
v_cmp_lt_u32 s[52:53], v10, s[sgprSizeI]           // coord0 < size0
v_cmp_lt_u32 s[54:55], v11, s[sgprSizeJ]           // coord1 < size1
s_and_b64 s[54:55], s[52:53], s[54:55]             // in0 && in1
v_mul_lo_u32 v9, v9, s[sgprStrideD1J]              // coord1 element offset =  coord1 * StrideD
_v_add_lshl_u32 v9, v9, v10, 0x2                   // scale to BPE
v_cndmask_b32 v9, -1, v9, s[54:55]                 // clip if OOB. offset
_buffer_store_b128 v[12:15], v9, s[sgprSrdD:sgprSrdD+3], 0, offen, offset:0 // store D
s_waitcnt lgkmcnt(6)                               // wait for LDS read
_v_add_u32 v11, v5, 1                              // coord1 += nColPerLoad
_v_add_u32 v10, v4, 0                              // coord0 += element index of load vector
_v_add_u32 v9, v6, 1                               // offset coord1 += nColPerLoad
v_cmp_lt_u32 s[52:53], v10, s[sgprSizeI]           // coord0 < size0
v_cmp_lt_u32 s[54:55], v11, s[sgprSizeJ]           // coord1 < size1
s_and_b64 s[54:55], s[52:53], s[54:55]             // in0 && in1
v_mul_lo_u32 v9, v9, s[sgprStrideD1J]              // coord1 element offset =  coord1 * StrideD
_v_add_lshl_u32 v9, v9, v10, 0x2                   // scale to BPE
v_cndmask_b32 v9, -1, v9, s[54:55]                 // clip if OOB. offset
_buffer_store_b128 v[16:19], v9, s[sgprSrdD:sgprSrdD+3], 0, offen, offset:0 // store D
	;; [unrolled: 11-line block ×8, first 2 shown]

s_barrier //wait all lds read finished
s_nop 0                                            // 1 wait state required when next inst writes vgprs held by previous dwordx4 store inst
/* optSingleColVgpr=0 optSharedColVgpr=0 optSGPRUsage=BufferLoad_Edge_Mask optSrdIncForRow=1 */

/******************************************/
/* Global Write Alpha Edge Batch #1 (d1,d0,vc1,vc0) = */
/*    (1,0,0,0:vw4); (1,1,0,0:vw4); (1,2,0,0:vw4); (1,3,0,0:vw4); (1,4,0,0:vw4); (1,5,0,0:vw4); (1,6,0,0:vw4); (1,7,0,0:vw4) */
/******************************************/

/* calc coords, apply mask, and issue loads (if necessary) */
/* (d1,vc1,d0,vc0)=(1,0,0,0) */
_v_add_co_u32 v1, vcc, v1, 32                      // coord1.1: coord1Vgpr += d1*sg1*VW + vc1
_v_add_lshl_u32 v9, v3, v0, 0x2                    // scaleToBpe: accumulate d0 lower and *= bpe into Cin addr
/* (d1,vc1,d0,vc0)=(1,0,1,0) */
_v_add_co_u32 v10, vcc, v0, 8                      // coord0.1: coord0 += d0*sg0*VW + vc0
_v_add_lshl_u32 v16, v3, v10, 0x2                  // scaleToBpe: accumulate d0 lower and *= bpe into Cin addr
/* (d1,vc1,d0,vc0)=(1,0,2,0) */
_v_add_co_u32 v10, vcc, v0, 16                     // coord0.1: coord0 += d0*sg0*VW + vc0
_v_add_lshl_u32 v17, v3, v10, 0x2                  // scaleToBpe: accumulate d0 lower and *= bpe into Cin addr
/* (d1,vc1,d0,vc0)=(1,0,3,0) */
_v_add_co_u32 v10, vcc, v0, 24                     // coord0.1: coord0 += d0*sg0*VW + vc0
_v_add_lshl_u32 v18, v3, v10, 0x2                  // scaleToBpe: accumulate d0 lower and *= bpe into Cin addr
/* (d1,vc1,d0,vc0)=(1,0,4,0) */
s_mov_b32 s52, 128                                 // coordOffset0 d0=4 vc0=0
_v_add_co_u32 v10, vcc, v0, s52                    // coord0.2: coord0 += d0*sg0*VW + vc0
_v_add_lshl_u32 v19, v3, v10, 0x2                  // scaleToBpe: accumulate d0 lower and *= bpe into Cin addr
/* (d1,vc1,d0,vc0)=(1,0,5,0) */
s_mov_b32 s52, 136                                 // coordOffset0 d0=5 vc0=0
_v_add_co_u32 v10, vcc, v0, s52                    // coord0.2: coord0 += d0*sg0*VW + vc0
	;; [unrolled: 4-line block ×4, first 2 shown]
_v_add_lshl_u32 v38, v3, v10, 0x2                  // scaleToBpe: accumulate d0 lower and *= bpe into Cin addr
v_accvgpr_read_b32 v[vgprValuC+12], acc32 // copy acc to vreg[32]
v_accvgpr_read_b32 v[vgprValuC+13], acc33 // copy acc to vreg[33]
v_accvgpr_read_b32 v[vgprValuC+14], acc34 // copy acc to vreg[34]
v_accvgpr_read_b32 v[vgprValuC+15], acc35 // copy acc to vreg[35]
v_accvgpr_read_b32 v[vgprValuC+20], acc36 // copy acc to vreg[36]
v_accvgpr_read_b32 v[vgprValuC+21], acc37 // copy acc to vreg[37]
v_accvgpr_read_b32 v[vgprValuC+22], acc38 // copy acc to vreg[38]
v_accvgpr_read_b32 v[vgprValuC+23], acc39 // copy acc to vreg[39]
v_accvgpr_read_b32 v[vgprValuC+24], acc40 // copy acc to vreg[40]
v_accvgpr_read_b32 v[vgprValuC+25], acc41 // copy acc to vreg[41]
v_accvgpr_read_b32 v[vgprValuC+26], acc42 // copy acc to vreg[42]
v_accvgpr_read_b32 v[vgprValuC+27], acc43 // copy acc to vreg[43]
v_accvgpr_read_b32 v[vgprValuC+28], acc44 // copy acc to vreg[44]
v_accvgpr_read_b32 v[vgprValuC+29], acc45 // copy acc to vreg[45]
v_accvgpr_read_b32 v[vgprValuC+30], acc46 // copy acc to vreg[46]
v_accvgpr_read_b32 v[vgprValuC+31], acc47 // copy acc to vreg[47]
v_accvgpr_read_b32 v[vgprValuC+32], acc48 // copy acc to vreg[48]
v_accvgpr_read_b32 v[vgprValuC+33], acc49 // copy acc to vreg[49]
v_accvgpr_read_b32 v[vgprValuC+34], acc50 // copy acc to vreg[50]
v_accvgpr_read_b32 v[vgprValuC+35], acc51 // copy acc to vreg[51]
v_accvgpr_read_b32 v[vgprValuC+40], acc52 // copy acc to vreg[52]
v_accvgpr_read_b32 v[vgprValuC+41], acc53 // copy acc to vreg[53]
v_accvgpr_read_b32 v[vgprValuC+42], acc54 // copy acc to vreg[54]
v_accvgpr_read_b32 v[vgprValuC+43], acc55 // copy acc to vreg[55]
v_accvgpr_read_b32 v[vgprValuC+52], acc56 // copy acc to vreg[56]
v_accvgpr_read_b32 v[vgprValuC+53], acc57 // copy acc to vreg[57]
v_accvgpr_read_b32 v[vgprValuC+54], acc58 // copy acc to vreg[58]
v_accvgpr_read_b32 v[vgprValuC+55], acc59 // copy acc to vreg[59]
v_accvgpr_read_b32 v[vgprValuC+56], acc60 // copy acc to vreg[60]
v_accvgpr_read_b32 v[vgprValuC+57], acc61 // copy acc to vreg[61]
v_accvgpr_read_b32 v[vgprValuC+58], acc62 // copy acc to vreg[62]
v_accvgpr_read_b32 v[vgprValuC+59], acc63 // copy acc to vreg[63]
s_nop 1                                            // 2 wait states required before reading vgpr

/* rC *= alpha batchElements=[(1, 0, 0, 0), (1, 1, 0, 0), (1, 2, 0, 0), (1, 3, 0, 0), (1, 4, 0, 0), (1, 5, 0, 0), (1, 6, 0, 0), (1, 7, 0, 0)] */
v_mul_lo_u32 v[vgprValuC+12], s[sgprAlpha], v[vgprValuC+12] // *= alpha
v_mul_lo_u32 v[vgprValuC+13], s[sgprAlpha], v[vgprValuC+13] // *= alpha
	;; [unrolled: 1-line block ×32, first 2 shown]

/* apply mask, calc new C and issue writes */

/* StoreRemap: shift coord1 address */
s_mul_i32 s52, s[sgprStrideD1J], 128               // scale StrideD *= numRows(32) * bpe
s_add_u32  s[sgprSrdD+0], s[sgprSrdD+0], s52       // incToNextRow: gra SRD += inc(lower)
s_addc_u32  s[sgprSrdD+1], s[sgprSrdD+1], 0        // incToNextRow: gra SRD += inc(upper)
v_mov_b32 v10, 32                                  // set shift rows
_v_add_u32 v5, v5, v10                             // shift storeRemap coord1
_ds_store_b128 v7, v[12:15], offset:0              // storeRemap lw
_ds_store_b128 v7, v[20:23], offset:32             // storeRemap lw
_ds_store_b128 v7, v[24:27], offset:64             // storeRemap lw
	;; [unrolled: 1-line block ×3, first 2 shown]
_ds_store_b128 v7, v[32:35], offset:512            // storeRemap lw
_ds_store_b128 v7, v[40:43], offset:544            // storeRemap lw
_ds_store_b128 v7, v[52:55], offset:576            // storeRemap lw
_ds_store_b128 v7, v[56:59], offset:608            // storeRemap lw

/* Handle local read and global write */
s_waitcnt lgkmcnt(0)                               // wait for LDS write
s_barrier //wait all lds write finished

_ds_load_b128 v[12:15], v8, offset:0               // storeRemap lr
_ds_load_b128 v[16:19], v8, offset:1040            // storeRemap lr
_ds_load_b128 v[20:23], v8, offset:2080            // storeRemap lr
	;; [unrolled: 1-line block ×7, first 2 shown]

s_waitcnt lgkmcnt(7)                               // wait for LDS read
_v_add_u32 v11, v5, 0                              // coord1 += nColPerLoad
_v_add_u32 v10, v4, 0                              // coord0 += element index of load vector
_v_add_u32 v9, v6, 0                               // offset coord1 += nColPerLoad
v_cmp_lt_u32 s[52:53], v10, s[sgprSizeI]           // coord0 < size0
v_cmp_lt_u32 s[54:55], v11, s[sgprSizeJ]           // coord1 < size1
s_and_b64 s[54:55], s[52:53], s[54:55]             // in0 && in1
v_mul_lo_u32 v9, v9, s[sgprStrideD1J]              // coord1 element offset =  coord1 * StrideD
_v_add_lshl_u32 v9, v9, v10, 0x2                   // scale to BPE
v_cndmask_b32 v9, -1, v9, s[54:55]                 // clip if OOB. offset
_buffer_store_b128 v[12:15], v9, s[sgprSrdD:sgprSrdD+3], 0, offen, offset:0 // store D
s_waitcnt lgkmcnt(6)                               // wait for LDS read
_v_add_u32 v11, v5, 1                              // coord1 += nColPerLoad
_v_add_u32 v10, v4, 0                              // coord0 += element index of load vector
_v_add_u32 v9, v6, 1                               // offset coord1 += nColPerLoad
v_cmp_lt_u32 s[52:53], v10, s[sgprSizeI]           // coord0 < size0
v_cmp_lt_u32 s[54:55], v11, s[sgprSizeJ]           // coord1 < size1
s_and_b64 s[54:55], s[52:53], s[54:55]             // in0 && in1
v_mul_lo_u32 v9, v9, s[sgprStrideD1J]              // coord1 element offset =  coord1 * StrideD
_v_add_lshl_u32 v9, v9, v10, 0x2                   // scale to BPE
v_cndmask_b32 v9, -1, v9, s[54:55]                 // clip if OOB. offset
_buffer_store_b128 v[16:19], v9, s[sgprSrdD:sgprSrdD+3], 0, offen, offset:0 // store D
	;; [unrolled: 11-line block ×8, first 2 shown]

s_barrier //wait all lds read finished
s_nop 0                                            // 1 wait state required when next inst writes vgprs held by previous dwordx4 store inst
/* optSingleColVgpr=0 optSharedColVgpr=0 optSGPRUsage=BufferLoad_Edge_Mask optSrdIncForRow=1 */

/******************************************/
/* Global Write Alpha Edge Batch #2 (d1,d0,vc1,vc0) = */
/*    (2,0,0,0:vw4); (2,1,0,0:vw4); (2,2,0,0:vw4); (2,3,0,0:vw4); (2,4,0,0:vw4); (2,5,0,0:vw4); (2,6,0,0:vw4); (2,7,0,0:vw4) */
/******************************************/

/* calc coords, apply mask, and issue loads (if necessary) */
/* (d1,vc1,d0,vc0)=(2,0,0,0) */
_v_add_co_u32 v1, vcc, v1, 32                      // coord1.1: coord1Vgpr += d1*sg1*VW + vc1
_v_add_lshl_u32 v9, v3, v0, 0x2                    // scaleToBpe: accumulate d0 lower and *= bpe into Cin addr
/* (d1,vc1,d0,vc0)=(2,0,1,0) */
_v_add_co_u32 v10, vcc, v0, 8                      // coord0.1: coord0 += d0*sg0*VW + vc0
_v_add_lshl_u32 v16, v3, v10, 0x2                  // scaleToBpe: accumulate d0 lower and *= bpe into Cin addr
/* (d1,vc1,d0,vc0)=(2,0,2,0) */
_v_add_co_u32 v10, vcc, v0, 16                     // coord0.1: coord0 += d0*sg0*VW + vc0
_v_add_lshl_u32 v17, v3, v10, 0x2                  // scaleToBpe: accumulate d0 lower and *= bpe into Cin addr
/* (d1,vc1,d0,vc0)=(2,0,3,0) */
_v_add_co_u32 v10, vcc, v0, 24                     // coord0.1: coord0 += d0*sg0*VW + vc0
_v_add_lshl_u32 v18, v3, v10, 0x2                  // scaleToBpe: accumulate d0 lower and *= bpe into Cin addr
/* (d1,vc1,d0,vc0)=(2,0,4,0) */
s_mov_b32 s52, 128                                 // coordOffset0 d0=4 vc0=0
_v_add_co_u32 v10, vcc, v0, s52                    // coord0.2: coord0 += d0*sg0*VW + vc0
_v_add_lshl_u32 v19, v3, v10, 0x2                  // scaleToBpe: accumulate d0 lower and *= bpe into Cin addr
/* (d1,vc1,d0,vc0)=(2,0,5,0) */
s_mov_b32 s52, 136                                 // coordOffset0 d0=5 vc0=0
_v_add_co_u32 v10, vcc, v0, s52                    // coord0.2: coord0 += d0*sg0*VW + vc0
	;; [unrolled: 4-line block ×4, first 2 shown]
_v_add_lshl_u32 v38, v3, v10, 0x2                  // scaleToBpe: accumulate d0 lower and *= bpe into Cin addr
v_accvgpr_read_b32 v[vgprValuC+12], acc64 // copy acc to vreg[64]
v_accvgpr_read_b32 v[vgprValuC+13], acc65 // copy acc to vreg[65]
v_accvgpr_read_b32 v[vgprValuC+14], acc66 // copy acc to vreg[66]
v_accvgpr_read_b32 v[vgprValuC+15], acc67 // copy acc to vreg[67]
v_accvgpr_read_b32 v[vgprValuC+20], acc68 // copy acc to vreg[68]
v_accvgpr_read_b32 v[vgprValuC+21], acc69 // copy acc to vreg[69]
v_accvgpr_read_b32 v[vgprValuC+22], acc70 // copy acc to vreg[70]
v_accvgpr_read_b32 v[vgprValuC+23], acc71 // copy acc to vreg[71]
v_accvgpr_read_b32 v[vgprValuC+24], acc72 // copy acc to vreg[72]
v_accvgpr_read_b32 v[vgprValuC+25], acc73 // copy acc to vreg[73]
v_accvgpr_read_b32 v[vgprValuC+26], acc74 // copy acc to vreg[74]
v_accvgpr_read_b32 v[vgprValuC+27], acc75 // copy acc to vreg[75]
v_accvgpr_read_b32 v[vgprValuC+28], acc76 // copy acc to vreg[76]
v_accvgpr_read_b32 v[vgprValuC+29], acc77 // copy acc to vreg[77]
v_accvgpr_read_b32 v[vgprValuC+30], acc78 // copy acc to vreg[78]
v_accvgpr_read_b32 v[vgprValuC+31], acc79 // copy acc to vreg[79]
v_accvgpr_read_b32 v[vgprValuC+32], acc80 // copy acc to vreg[80]
v_accvgpr_read_b32 v[vgprValuC+33], acc81 // copy acc to vreg[81]
v_accvgpr_read_b32 v[vgprValuC+34], acc82 // copy acc to vreg[82]
v_accvgpr_read_b32 v[vgprValuC+35], acc83 // copy acc to vreg[83]
v_accvgpr_read_b32 v[vgprValuC+40], acc84 // copy acc to vreg[84]
v_accvgpr_read_b32 v[vgprValuC+41], acc85 // copy acc to vreg[85]
v_accvgpr_read_b32 v[vgprValuC+42], acc86 // copy acc to vreg[86]
v_accvgpr_read_b32 v[vgprValuC+43], acc87 // copy acc to vreg[87]
v_accvgpr_read_b32 v[vgprValuC+52], acc88 // copy acc to vreg[88]
v_accvgpr_read_b32 v[vgprValuC+53], acc89 // copy acc to vreg[89]
v_accvgpr_read_b32 v[vgprValuC+54], acc90 // copy acc to vreg[90]
v_accvgpr_read_b32 v[vgprValuC+55], acc91 // copy acc to vreg[91]
v_accvgpr_read_b32 v[vgprValuC+56], acc92 // copy acc to vreg[92]
v_accvgpr_read_b32 v[vgprValuC+57], acc93 // copy acc to vreg[93]
v_accvgpr_read_b32 v[vgprValuC+58], acc94 // copy acc to vreg[94]
v_accvgpr_read_b32 v[vgprValuC+59], acc95 // copy acc to vreg[95]
s_nop 1                                            // 2 wait states required before reading vgpr

/* rC *= alpha batchElements=[(2, 0, 0, 0), (2, 1, 0, 0), (2, 2, 0, 0), (2, 3, 0, 0), (2, 4, 0, 0), (2, 5, 0, 0), (2, 6, 0, 0), (2, 7, 0, 0)] */
v_mul_lo_u32 v[vgprValuC+12], s[sgprAlpha], v[vgprValuC+12] // *= alpha
v_mul_lo_u32 v[vgprValuC+13], s[sgprAlpha], v[vgprValuC+13] // *= alpha
	;; [unrolled: 1-line block ×32, first 2 shown]

/* apply mask, calc new C and issue writes */

/* StoreRemap: shift coord1 address */
s_mul_i32 s52, s[sgprStrideD1J], 128               // scale StrideD *= numRows(32) * bpe
s_add_u32  s[sgprSrdD+0], s[sgprSrdD+0], s52       // incToNextRow: gra SRD += inc(lower)
s_addc_u32  s[sgprSrdD+1], s[sgprSrdD+1], 0        // incToNextRow: gra SRD += inc(upper)
v_mov_b32 v10, 32                                  // set shift rows
_v_add_u32 v5, v5, v10                             // shift storeRemap coord1
_ds_store_b128 v7, v[12:15], offset:0              // storeRemap lw
_ds_store_b128 v7, v[20:23], offset:32             // storeRemap lw
_ds_store_b128 v7, v[24:27], offset:64             // storeRemap lw
	;; [unrolled: 1-line block ×3, first 2 shown]
_ds_store_b128 v7, v[32:35], offset:512            // storeRemap lw
_ds_store_b128 v7, v[40:43], offset:544            // storeRemap lw
	;; [unrolled: 1-line block ×4, first 2 shown]

/* Handle local read and global write */
s_waitcnt lgkmcnt(0)                               // wait for LDS write
s_barrier //wait all lds write finished

_ds_load_b128 v[12:15], v8, offset:0               // storeRemap lr
_ds_load_b128 v[16:19], v8, offset:1040            // storeRemap lr
_ds_load_b128 v[20:23], v8, offset:2080            // storeRemap lr
	;; [unrolled: 1-line block ×7, first 2 shown]

s_waitcnt lgkmcnt(7)                               // wait for LDS read
_v_add_u32 v11, v5, 0                              // coord1 += nColPerLoad
_v_add_u32 v10, v4, 0                              // coord0 += element index of load vector
_v_add_u32 v9, v6, 0                               // offset coord1 += nColPerLoad
v_cmp_lt_u32 s[52:53], v10, s[sgprSizeI]           // coord0 < size0
v_cmp_lt_u32 s[54:55], v11, s[sgprSizeJ]           // coord1 < size1
s_and_b64 s[54:55], s[52:53], s[54:55]             // in0 && in1
v_mul_lo_u32 v9, v9, s[sgprStrideD1J]              // coord1 element offset =  coord1 * StrideD
_v_add_lshl_u32 v9, v9, v10, 0x2                   // scale to BPE
v_cndmask_b32 v9, -1, v9, s[54:55]                 // clip if OOB. offset
_buffer_store_b128 v[12:15], v9, s[sgprSrdD:sgprSrdD+3], 0, offen, offset:0 // store D
s_waitcnt lgkmcnt(6)                               // wait for LDS read
_v_add_u32 v11, v5, 1                              // coord1 += nColPerLoad
_v_add_u32 v10, v4, 0                              // coord0 += element index of load vector
_v_add_u32 v9, v6, 1                               // offset coord1 += nColPerLoad
v_cmp_lt_u32 s[52:53], v10, s[sgprSizeI]           // coord0 < size0
v_cmp_lt_u32 s[54:55], v11, s[sgprSizeJ]           // coord1 < size1
s_and_b64 s[54:55], s[52:53], s[54:55]             // in0 && in1
v_mul_lo_u32 v9, v9, s[sgprStrideD1J]              // coord1 element offset =  coord1 * StrideD
_v_add_lshl_u32 v9, v9, v10, 0x2                   // scale to BPE
v_cndmask_b32 v9, -1, v9, s[54:55]                 // clip if OOB. offset
_buffer_store_b128 v[16:19], v9, s[sgprSrdD:sgprSrdD+3], 0, offen, offset:0 // store D
	;; [unrolled: 11-line block ×8, first 2 shown]

s_barrier //wait all lds read finished
s_nop 0                                            // 1 wait state required when next inst writes vgprs held by previous dwordx4 store inst
/* optSingleColVgpr=0 optSharedColVgpr=0 optSGPRUsage=BufferLoad_Edge_Mask optSrdIncForRow=1 */

/******************************************/
/* Global Write Alpha Edge Batch #3 (d1,d0,vc1,vc0) = */
/*    (3,0,0,0:vw4); (3,1,0,0:vw4); (3,2,0,0:vw4); (3,3,0,0:vw4); (3,4,0,0:vw4); (3,5,0,0:vw4); (3,6,0,0:vw4); (3,7,0,0:vw4) */
/******************************************/

/* calc coords, apply mask, and issue loads (if necessary) */
/* (d1,vc1,d0,vc0)=(3,0,0,0) */
_v_add_co_u32 v1, vcc, v1, 32                      // coord1.1: coord1Vgpr += d1*sg1*VW + vc1
_v_add_lshl_u32 v9, v3, v0, 0x2                    // scaleToBpe: accumulate d0 lower and *= bpe into Cin addr
/* (d1,vc1,d0,vc0)=(3,0,1,0) */
_v_add_co_u32 v10, vcc, v0, 8                      // coord0.1: coord0 += d0*sg0*VW + vc0
_v_add_lshl_u32 v16, v3, v10, 0x2                  // scaleToBpe: accumulate d0 lower and *= bpe into Cin addr
/* (d1,vc1,d0,vc0)=(3,0,2,0) */
_v_add_co_u32 v10, vcc, v0, 16                     // coord0.1: coord0 += d0*sg0*VW + vc0
_v_add_lshl_u32 v17, v3, v10, 0x2                  // scaleToBpe: accumulate d0 lower and *= bpe into Cin addr
/* (d1,vc1,d0,vc0)=(3,0,3,0) */
_v_add_co_u32 v10, vcc, v0, 24                     // coord0.1: coord0 += d0*sg0*VW + vc0
_v_add_lshl_u32 v18, v3, v10, 0x2                  // scaleToBpe: accumulate d0 lower and *= bpe into Cin addr
/* (d1,vc1,d0,vc0)=(3,0,4,0) */
s_mov_b32 s52, 128                                 // coordOffset0 d0=4 vc0=0
_v_add_co_u32 v10, vcc, v0, s52                    // coord0.2: coord0 += d0*sg0*VW + vc0
_v_add_lshl_u32 v19, v3, v10, 0x2                  // scaleToBpe: accumulate d0 lower and *= bpe into Cin addr
/* (d1,vc1,d0,vc0)=(3,0,5,0) */
s_mov_b32 s52, 136                                 // coordOffset0 d0=5 vc0=0
_v_add_co_u32 v10, vcc, v0, s52                    // coord0.2: coord0 += d0*sg0*VW + vc0
	;; [unrolled: 4-line block ×4, first 2 shown]
_v_add_lshl_u32 v38, v3, v10, 0x2                  // scaleToBpe: accumulate d0 lower and *= bpe into Cin addr
v_accvgpr_read_b32 v[vgprValuC+12], acc96 // copy acc to vreg[96]
v_accvgpr_read_b32 v[vgprValuC+13], acc97 // copy acc to vreg[97]
v_accvgpr_read_b32 v[vgprValuC+14], acc98 // copy acc to vreg[98]
v_accvgpr_read_b32 v[vgprValuC+15], acc99 // copy acc to vreg[99]
v_accvgpr_read_b32 v[vgprValuC+20], acc100 // copy acc to vreg[100]
v_accvgpr_read_b32 v[vgprValuC+21], acc101 // copy acc to vreg[101]
v_accvgpr_read_b32 v[vgprValuC+22], acc102 // copy acc to vreg[102]
v_accvgpr_read_b32 v[vgprValuC+23], acc103 // copy acc to vreg[103]
v_accvgpr_read_b32 v[vgprValuC+24], acc104 // copy acc to vreg[104]
v_accvgpr_read_b32 v[vgprValuC+25], acc105 // copy acc to vreg[105]
v_accvgpr_read_b32 v[vgprValuC+26], acc106 // copy acc to vreg[106]
v_accvgpr_read_b32 v[vgprValuC+27], acc107 // copy acc to vreg[107]
v_accvgpr_read_b32 v[vgprValuC+28], acc108 // copy acc to vreg[108]
v_accvgpr_read_b32 v[vgprValuC+29], acc109 // copy acc to vreg[109]
v_accvgpr_read_b32 v[vgprValuC+30], acc110 // copy acc to vreg[110]
v_accvgpr_read_b32 v[vgprValuC+31], acc111 // copy acc to vreg[111]
v_accvgpr_read_b32 v[vgprValuC+32], acc112 // copy acc to vreg[112]
v_accvgpr_read_b32 v[vgprValuC+33], acc113 // copy acc to vreg[113]
v_accvgpr_read_b32 v[vgprValuC+34], acc114 // copy acc to vreg[114]
v_accvgpr_read_b32 v[vgprValuC+35], acc115 // copy acc to vreg[115]
v_accvgpr_read_b32 v[vgprValuC+40], acc116 // copy acc to vreg[116]
v_accvgpr_read_b32 v[vgprValuC+41], acc117 // copy acc to vreg[117]
v_accvgpr_read_b32 v[vgprValuC+42], acc118 // copy acc to vreg[118]
v_accvgpr_read_b32 v[vgprValuC+43], acc119 // copy acc to vreg[119]
v_accvgpr_read_b32 v[vgprValuC+52], acc120 // copy acc to vreg[120]
v_accvgpr_read_b32 v[vgprValuC+53], acc121 // copy acc to vreg[121]
v_accvgpr_read_b32 v[vgprValuC+54], acc122 // copy acc to vreg[122]
v_accvgpr_read_b32 v[vgprValuC+55], acc123 // copy acc to vreg[123]
v_accvgpr_read_b32 v[vgprValuC+56], acc124 // copy acc to vreg[124]
v_accvgpr_read_b32 v[vgprValuC+57], acc125 // copy acc to vreg[125]
v_accvgpr_read_b32 v[vgprValuC+58], acc126 // copy acc to vreg[126]
v_accvgpr_read_b32 v[vgprValuC+59], acc127 // copy acc to vreg[127]
s_nop 1                                            // 2 wait states required before reading vgpr

/* rC *= alpha batchElements=[(3, 0, 0, 0), (3, 1, 0, 0), (3, 2, 0, 0), (3, 3, 0, 0), (3, 4, 0, 0), (3, 5, 0, 0), (3, 6, 0, 0), (3, 7, 0, 0)] */
v_mul_lo_u32 v[vgprValuC+12], s[sgprAlpha], v[vgprValuC+12] // *= alpha
v_mul_lo_u32 v[vgprValuC+13], s[sgprAlpha], v[vgprValuC+13] // *= alpha
	;; [unrolled: 1-line block ×32, first 2 shown]

/* apply mask, calc new C and issue writes */

/* StoreRemap: shift coord1 address */
s_mul_i32 s52, s[sgprStrideD1J], 128               // scale StrideD *= numRows(32) * bpe
s_add_u32  s[sgprSrdD+0], s[sgprSrdD+0], s52       // incToNextRow: gra SRD += inc(lower)
s_addc_u32  s[sgprSrdD+1], s[sgprSrdD+1], 0        // incToNextRow: gra SRD += inc(upper)
v_mov_b32 v10, 32                                  // set shift rows
_v_add_u32 v5, v5, v10                             // shift storeRemap coord1
_ds_store_b128 v7, v[12:15], offset:0              // storeRemap lw
_ds_store_b128 v7, v[20:23], offset:32             // storeRemap lw
_ds_store_b128 v7, v[24:27], offset:64             // storeRemap lw
	;; [unrolled: 1-line block ×3, first 2 shown]
_ds_store_b128 v7, v[32:35], offset:512            // storeRemap lw
_ds_store_b128 v7, v[40:43], offset:544            // storeRemap lw
	;; [unrolled: 1-line block ×4, first 2 shown]

/* Handle local read and global write */
s_waitcnt lgkmcnt(0)                               // wait for LDS write
s_barrier //wait all lds write finished

_ds_load_b128 v[12:15], v8, offset:0               // storeRemap lr
_ds_load_b128 v[16:19], v8, offset:1040            // storeRemap lr
_ds_load_b128 v[20:23], v8, offset:2080            // storeRemap lr
	;; [unrolled: 1-line block ×7, first 2 shown]

s_waitcnt lgkmcnt(7)                               // wait for LDS read
_v_add_u32 v11, v5, 0                              // coord1 += nColPerLoad
_v_add_u32 v10, v4, 0                              // coord0 += element index of load vector
_v_add_u32 v9, v6, 0                               // offset coord1 += nColPerLoad
v_cmp_lt_u32 s[52:53], v10, s[sgprSizeI]           // coord0 < size0
v_cmp_lt_u32 s[54:55], v11, s[sgprSizeJ]           // coord1 < size1
s_and_b64 s[54:55], s[52:53], s[54:55]             // in0 && in1
v_mul_lo_u32 v9, v9, s[sgprStrideD1J]              // coord1 element offset =  coord1 * StrideD
_v_add_lshl_u32 v9, v9, v10, 0x2                   // scale to BPE
v_cndmask_b32 v9, -1, v9, s[54:55]                 // clip if OOB. offset
_buffer_store_b128 v[12:15], v9, s[sgprSrdD:sgprSrdD+3], 0, offen, offset:0 // store D
s_waitcnt lgkmcnt(6)                               // wait for LDS read
_v_add_u32 v11, v5, 1                              // coord1 += nColPerLoad
_v_add_u32 v10, v4, 0                              // coord0 += element index of load vector
_v_add_u32 v9, v6, 1                               // offset coord1 += nColPerLoad
v_cmp_lt_u32 s[52:53], v10, s[sgprSizeI]           // coord0 < size0
v_cmp_lt_u32 s[54:55], v11, s[sgprSizeJ]           // coord1 < size1
s_and_b64 s[54:55], s[52:53], s[54:55]             // in0 && in1
v_mul_lo_u32 v9, v9, s[sgprStrideD1J]              // coord1 element offset =  coord1 * StrideD
_v_add_lshl_u32 v9, v9, v10, 0x2                   // scale to BPE
v_cndmask_b32 v9, -1, v9, s[54:55]                 // clip if OOB. offset
_buffer_store_b128 v[16:19], v9, s[sgprSrdD:sgprSrdD+3], 0, offen, offset:0 // store D
	;; [unrolled: 11-line block ×8, first 2 shown]

s_barrier //wait all lds read finished
s_nop 0                                            // 1 wait state required when next inst writes vgprs held by previous dwordx4 store inst
/* optSingleColVgpr=0 optSharedColVgpr=0 optSGPRUsage=BufferLoad_Edge_Mask optSrdIncForRow=1 */

/******************************************/
/* Global Write Alpha Edge Batch #4 (d1,d0,vc1,vc0) = */
/*    (4,0,0,0:vw4); (4,1,0,0:vw4); (4,2,0,0:vw4); (4,3,0,0:vw4); (4,4,0,0:vw4); (4,5,0,0:vw4); (4,6,0,0:vw4); (4,7,0,0:vw4) */
/******************************************/

/* calc coords, apply mask, and issue loads (if necessary) */
/* (d1,vc1,d0,vc0)=(4,0,0,0) */
_v_add_co_u32 v1, vcc, v1, 32                      // coord1.1: coord1Vgpr += d1*sg1*VW + vc1
_v_add_lshl_u32 v9, v3, v0, 0x2                    // scaleToBpe: accumulate d0 lower and *= bpe into Cin addr
/* (d1,vc1,d0,vc0)=(4,0,1,0) */
_v_add_co_u32 v10, vcc, v0, 8                      // coord0.1: coord0 += d0*sg0*VW + vc0
_v_add_lshl_u32 v16, v3, v10, 0x2                  // scaleToBpe: accumulate d0 lower and *= bpe into Cin addr
/* (d1,vc1,d0,vc0)=(4,0,2,0) */
_v_add_co_u32 v10, vcc, v0, 16                     // coord0.1: coord0 += d0*sg0*VW + vc0
_v_add_lshl_u32 v17, v3, v10, 0x2                  // scaleToBpe: accumulate d0 lower and *= bpe into Cin addr
/* (d1,vc1,d0,vc0)=(4,0,3,0) */
_v_add_co_u32 v10, vcc, v0, 24                     // coord0.1: coord0 += d0*sg0*VW + vc0
_v_add_lshl_u32 v18, v3, v10, 0x2                  // scaleToBpe: accumulate d0 lower and *= bpe into Cin addr
/* (d1,vc1,d0,vc0)=(4,0,4,0) */
s_mov_b32 s52, 128                                 // coordOffset0 d0=4 vc0=0
_v_add_co_u32 v10, vcc, v0, s52                    // coord0.2: coord0 += d0*sg0*VW + vc0
_v_add_lshl_u32 v19, v3, v10, 0x2                  // scaleToBpe: accumulate d0 lower and *= bpe into Cin addr
/* (d1,vc1,d0,vc0)=(4,0,5,0) */
s_mov_b32 s52, 136                                 // coordOffset0 d0=5 vc0=0
_v_add_co_u32 v10, vcc, v0, s52                    // coord0.2: coord0 += d0*sg0*VW + vc0
	;; [unrolled: 4-line block ×4, first 2 shown]
_v_add_lshl_u32 v38, v3, v10, 0x2                  // scaleToBpe: accumulate d0 lower and *= bpe into Cin addr
v_accvgpr_read_b32 v[vgprValuC+12], acc128 // copy acc to vreg[128]
v_accvgpr_read_b32 v[vgprValuC+13], acc129 // copy acc to vreg[129]
v_accvgpr_read_b32 v[vgprValuC+14], acc130 // copy acc to vreg[130]
v_accvgpr_read_b32 v[vgprValuC+15], acc131 // copy acc to vreg[131]
v_accvgpr_read_b32 v[vgprValuC+20], acc132 // copy acc to vreg[132]
v_accvgpr_read_b32 v[vgprValuC+21], acc133 // copy acc to vreg[133]
v_accvgpr_read_b32 v[vgprValuC+22], acc134 // copy acc to vreg[134]
v_accvgpr_read_b32 v[vgprValuC+23], acc135 // copy acc to vreg[135]
v_accvgpr_read_b32 v[vgprValuC+24], acc136 // copy acc to vreg[136]
v_accvgpr_read_b32 v[vgprValuC+25], acc137 // copy acc to vreg[137]
v_accvgpr_read_b32 v[vgprValuC+26], acc138 // copy acc to vreg[138]
v_accvgpr_read_b32 v[vgprValuC+27], acc139 // copy acc to vreg[139]
v_accvgpr_read_b32 v[vgprValuC+28], acc140 // copy acc to vreg[140]
v_accvgpr_read_b32 v[vgprValuC+29], acc141 // copy acc to vreg[141]
v_accvgpr_read_b32 v[vgprValuC+30], acc142 // copy acc to vreg[142]
v_accvgpr_read_b32 v[vgprValuC+31], acc143 // copy acc to vreg[143]
v_accvgpr_read_b32 v[vgprValuC+32], acc144 // copy acc to vreg[144]
v_accvgpr_read_b32 v[vgprValuC+33], acc145 // copy acc to vreg[145]
v_accvgpr_read_b32 v[vgprValuC+34], acc146 // copy acc to vreg[146]
v_accvgpr_read_b32 v[vgprValuC+35], acc147 // copy acc to vreg[147]
v_accvgpr_read_b32 v[vgprValuC+40], acc148 // copy acc to vreg[148]
v_accvgpr_read_b32 v[vgprValuC+41], acc149 // copy acc to vreg[149]
v_accvgpr_read_b32 v[vgprValuC+42], acc150 // copy acc to vreg[150]
v_accvgpr_read_b32 v[vgprValuC+43], acc151 // copy acc to vreg[151]
v_accvgpr_read_b32 v[vgprValuC+52], acc152 // copy acc to vreg[152]
v_accvgpr_read_b32 v[vgprValuC+53], acc153 // copy acc to vreg[153]
v_accvgpr_read_b32 v[vgprValuC+54], acc154 // copy acc to vreg[154]
v_accvgpr_read_b32 v[vgprValuC+55], acc155 // copy acc to vreg[155]
v_accvgpr_read_b32 v[vgprValuC+56], acc156 // copy acc to vreg[156]
v_accvgpr_read_b32 v[vgprValuC+57], acc157 // copy acc to vreg[157]
v_accvgpr_read_b32 v[vgprValuC+58], acc158 // copy acc to vreg[158]
v_accvgpr_read_b32 v[vgprValuC+59], acc159 // copy acc to vreg[159]
s_nop 1                                            // 2 wait states required before reading vgpr

/* rC *= alpha batchElements=[(4, 0, 0, 0), (4, 1, 0, 0), (4, 2, 0, 0), (4, 3, 0, 0), (4, 4, 0, 0), (4, 5, 0, 0), (4, 6, 0, 0), (4, 7, 0, 0)] */
v_mul_lo_u32 v[vgprValuC+12], s[sgprAlpha], v[vgprValuC+12] // *= alpha
v_mul_lo_u32 v[vgprValuC+13], s[sgprAlpha], v[vgprValuC+13] // *= alpha
	;; [unrolled: 1-line block ×32, first 2 shown]

/* apply mask, calc new C and issue writes */

/* StoreRemap: shift coord1 address */
s_mul_i32 s52, s[sgprStrideD1J], 128               // scale StrideD *= numRows(32) * bpe
s_add_u32  s[sgprSrdD+0], s[sgprSrdD+0], s52       // incToNextRow: gra SRD += inc(lower)
s_addc_u32  s[sgprSrdD+1], s[sgprSrdD+1], 0        // incToNextRow: gra SRD += inc(upper)
v_mov_b32 v10, 32                                  // set shift rows
_v_add_u32 v5, v5, v10                             // shift storeRemap coord1
_ds_store_b128 v7, v[12:15], offset:0              // storeRemap lw
_ds_store_b128 v7, v[20:23], offset:32             // storeRemap lw
_ds_store_b128 v7, v[24:27], offset:64             // storeRemap lw
	;; [unrolled: 1-line block ×3, first 2 shown]
_ds_store_b128 v7, v[32:35], offset:512            // storeRemap lw
_ds_store_b128 v7, v[40:43], offset:544            // storeRemap lw
_ds_store_b128 v7, v[52:55], offset:576            // storeRemap lw
_ds_store_b128 v7, v[56:59], offset:608            // storeRemap lw

/* Handle local read and global write */
s_waitcnt lgkmcnt(0)                               // wait for LDS write
s_barrier //wait all lds write finished

_ds_load_b128 v[12:15], v8, offset:0               // storeRemap lr
_ds_load_b128 v[16:19], v8, offset:1040            // storeRemap lr
_ds_load_b128 v[20:23], v8, offset:2080            // storeRemap lr
	;; [unrolled: 1-line block ×7, first 2 shown]

s_waitcnt lgkmcnt(7)                               // wait for LDS read
_v_add_u32 v11, v5, 0                              // coord1 += nColPerLoad
_v_add_u32 v10, v4, 0                              // coord0 += element index of load vector
_v_add_u32 v9, v6, 0                               // offset coord1 += nColPerLoad
v_cmp_lt_u32 s[52:53], v10, s[sgprSizeI]           // coord0 < size0
v_cmp_lt_u32 s[54:55], v11, s[sgprSizeJ]           // coord1 < size1
s_and_b64 s[54:55], s[52:53], s[54:55]             // in0 && in1
v_mul_lo_u32 v9, v9, s[sgprStrideD1J]              // coord1 element offset =  coord1 * StrideD
_v_add_lshl_u32 v9, v9, v10, 0x2                   // scale to BPE
v_cndmask_b32 v9, -1, v9, s[54:55]                 // clip if OOB. offset
_buffer_store_b128 v[12:15], v9, s[sgprSrdD:sgprSrdD+3], 0, offen, offset:0 // store D
s_waitcnt lgkmcnt(6)                               // wait for LDS read
_v_add_u32 v11, v5, 1                              // coord1 += nColPerLoad
_v_add_u32 v10, v4, 0                              // coord0 += element index of load vector
_v_add_u32 v9, v6, 1                               // offset coord1 += nColPerLoad
v_cmp_lt_u32 s[52:53], v10, s[sgprSizeI]           // coord0 < size0
v_cmp_lt_u32 s[54:55], v11, s[sgprSizeJ]           // coord1 < size1
s_and_b64 s[54:55], s[52:53], s[54:55]             // in0 && in1
v_mul_lo_u32 v9, v9, s[sgprStrideD1J]              // coord1 element offset =  coord1 * StrideD
_v_add_lshl_u32 v9, v9, v10, 0x2                   // scale to BPE
v_cndmask_b32 v9, -1, v9, s[54:55]                 // clip if OOB. offset
_buffer_store_b128 v[16:19], v9, s[sgprSrdD:sgprSrdD+3], 0, offen, offset:0 // store D
	;; [unrolled: 11-line block ×8, first 2 shown]

s_barrier //wait all lds read finished
s_nop 0                                            // 1 wait state required when next inst writes vgprs held by previous dwordx4 store inst
/* optSingleColVgpr=0 optSharedColVgpr=0 optSGPRUsage=BufferLoad_Edge_Mask optSrdIncForRow=1 */

/******************************************/
/* Global Write Alpha Edge Batch #5 (d1,d0,vc1,vc0) = */
/*    (5,0,0,0:vw4); (5,1,0,0:vw4); (5,2,0,0:vw4); (5,3,0,0:vw4); (5,4,0,0:vw4); (5,5,0,0:vw4); (5,6,0,0:vw4); (5,7,0,0:vw4) */
/******************************************/

/* calc coords, apply mask, and issue loads (if necessary) */
/* (d1,vc1,d0,vc0)=(5,0,0,0) */
_v_add_co_u32 v1, vcc, v1, 32                      // coord1.1: coord1Vgpr += d1*sg1*VW + vc1
_v_add_lshl_u32 v9, v3, v0, 0x2                    // scaleToBpe: accumulate d0 lower and *= bpe into Cin addr
/* (d1,vc1,d0,vc0)=(5,0,1,0) */
_v_add_co_u32 v10, vcc, v0, 8                      // coord0.1: coord0 += d0*sg0*VW + vc0
_v_add_lshl_u32 v16, v3, v10, 0x2                  // scaleToBpe: accumulate d0 lower and *= bpe into Cin addr
/* (d1,vc1,d0,vc0)=(5,0,2,0) */
_v_add_co_u32 v10, vcc, v0, 16                     // coord0.1: coord0 += d0*sg0*VW + vc0
_v_add_lshl_u32 v17, v3, v10, 0x2                  // scaleToBpe: accumulate d0 lower and *= bpe into Cin addr
/* (d1,vc1,d0,vc0)=(5,0,3,0) */
_v_add_co_u32 v10, vcc, v0, 24                     // coord0.1: coord0 += d0*sg0*VW + vc0
_v_add_lshl_u32 v18, v3, v10, 0x2                  // scaleToBpe: accumulate d0 lower and *= bpe into Cin addr
/* (d1,vc1,d0,vc0)=(5,0,4,0) */
s_mov_b32 s52, 128                                 // coordOffset0 d0=4 vc0=0
_v_add_co_u32 v10, vcc, v0, s52                    // coord0.2: coord0 += d0*sg0*VW + vc0
_v_add_lshl_u32 v19, v3, v10, 0x2                  // scaleToBpe: accumulate d0 lower and *= bpe into Cin addr
/* (d1,vc1,d0,vc0)=(5,0,5,0) */
s_mov_b32 s52, 136                                 // coordOffset0 d0=5 vc0=0
_v_add_co_u32 v10, vcc, v0, s52                    // coord0.2: coord0 += d0*sg0*VW + vc0
	;; [unrolled: 4-line block ×4, first 2 shown]
_v_add_lshl_u32 v38, v3, v10, 0x2                  // scaleToBpe: accumulate d0 lower and *= bpe into Cin addr
v_accvgpr_read_b32 v[vgprValuC+12], acc160 // copy acc to vreg[160]
v_accvgpr_read_b32 v[vgprValuC+13], acc161 // copy acc to vreg[161]
v_accvgpr_read_b32 v[vgprValuC+14], acc162 // copy acc to vreg[162]
v_accvgpr_read_b32 v[vgprValuC+15], acc163 // copy acc to vreg[163]
v_accvgpr_read_b32 v[vgprValuC+20], acc164 // copy acc to vreg[164]
v_accvgpr_read_b32 v[vgprValuC+21], acc165 // copy acc to vreg[165]
v_accvgpr_read_b32 v[vgprValuC+22], acc166 // copy acc to vreg[166]
v_accvgpr_read_b32 v[vgprValuC+23], acc167 // copy acc to vreg[167]
v_accvgpr_read_b32 v[vgprValuC+24], acc168 // copy acc to vreg[168]
v_accvgpr_read_b32 v[vgprValuC+25], acc169 // copy acc to vreg[169]
v_accvgpr_read_b32 v[vgprValuC+26], acc170 // copy acc to vreg[170]
v_accvgpr_read_b32 v[vgprValuC+27], acc171 // copy acc to vreg[171]
v_accvgpr_read_b32 v[vgprValuC+28], acc172 // copy acc to vreg[172]
v_accvgpr_read_b32 v[vgprValuC+29], acc173 // copy acc to vreg[173]
v_accvgpr_read_b32 v[vgprValuC+30], acc174 // copy acc to vreg[174]
v_accvgpr_read_b32 v[vgprValuC+31], acc175 // copy acc to vreg[175]
v_accvgpr_read_b32 v[vgprValuC+32], acc176 // copy acc to vreg[176]
v_accvgpr_read_b32 v[vgprValuC+33], acc177 // copy acc to vreg[177]
v_accvgpr_read_b32 v[vgprValuC+34], acc178 // copy acc to vreg[178]
v_accvgpr_read_b32 v[vgprValuC+35], acc179 // copy acc to vreg[179]
v_accvgpr_read_b32 v[vgprValuC+40], acc180 // copy acc to vreg[180]
v_accvgpr_read_b32 v[vgprValuC+41], acc181 // copy acc to vreg[181]
v_accvgpr_read_b32 v[vgprValuC+42], acc182 // copy acc to vreg[182]
v_accvgpr_read_b32 v[vgprValuC+43], acc183 // copy acc to vreg[183]
v_accvgpr_read_b32 v[vgprValuC+52], acc184 // copy acc to vreg[184]
v_accvgpr_read_b32 v[vgprValuC+53], acc185 // copy acc to vreg[185]
v_accvgpr_read_b32 v[vgprValuC+54], acc186 // copy acc to vreg[186]
v_accvgpr_read_b32 v[vgprValuC+55], acc187 // copy acc to vreg[187]
v_accvgpr_read_b32 v[vgprValuC+56], acc188 // copy acc to vreg[188]
v_accvgpr_read_b32 v[vgprValuC+57], acc189 // copy acc to vreg[189]
v_accvgpr_read_b32 v[vgprValuC+58], acc190 // copy acc to vreg[190]
v_accvgpr_read_b32 v[vgprValuC+59], acc191 // copy acc to vreg[191]
s_nop 1                                            // 2 wait states required before reading vgpr

/* rC *= alpha batchElements=[(5, 0, 0, 0), (5, 1, 0, 0), (5, 2, 0, 0), (5, 3, 0, 0), (5, 4, 0, 0), (5, 5, 0, 0), (5, 6, 0, 0), (5, 7, 0, 0)] */
v_mul_lo_u32 v[vgprValuC+12], s[sgprAlpha], v[vgprValuC+12] // *= alpha
v_mul_lo_u32 v[vgprValuC+13], s[sgprAlpha], v[vgprValuC+13] // *= alpha
	;; [unrolled: 1-line block ×32, first 2 shown]

/* apply mask, calc new C and issue writes */

/* StoreRemap: shift coord1 address */
s_mul_i32 s52, s[sgprStrideD1J], 128               // scale StrideD *= numRows(32) * bpe
s_add_u32  s[sgprSrdD+0], s[sgprSrdD+0], s52       // incToNextRow: gra SRD += inc(lower)
s_addc_u32  s[sgprSrdD+1], s[sgprSrdD+1], 0        // incToNextRow: gra SRD += inc(upper)
v_mov_b32 v10, 32                                  // set shift rows
_v_add_u32 v5, v5, v10                             // shift storeRemap coord1
_ds_store_b128 v7, v[12:15], offset:0              // storeRemap lw
_ds_store_b128 v7, v[20:23], offset:32             // storeRemap lw
_ds_store_b128 v7, v[24:27], offset:64             // storeRemap lw
	;; [unrolled: 1-line block ×3, first 2 shown]
_ds_store_b128 v7, v[32:35], offset:512            // storeRemap lw
_ds_store_b128 v7, v[40:43], offset:544            // storeRemap lw
	;; [unrolled: 1-line block ×4, first 2 shown]

/* Handle local read and global write */
s_waitcnt lgkmcnt(0)                               // wait for LDS write
s_barrier //wait all lds write finished

_ds_load_b128 v[12:15], v8, offset:0               // storeRemap lr
_ds_load_b128 v[16:19], v8, offset:1040            // storeRemap lr
_ds_load_b128 v[20:23], v8, offset:2080            // storeRemap lr
	;; [unrolled: 1-line block ×7, first 2 shown]

s_waitcnt lgkmcnt(7)                               // wait for LDS read
_v_add_u32 v11, v5, 0                              // coord1 += nColPerLoad
_v_add_u32 v10, v4, 0                              // coord0 += element index of load vector
_v_add_u32 v9, v6, 0                               // offset coord1 += nColPerLoad
v_cmp_lt_u32 s[52:53], v10, s[sgprSizeI]           // coord0 < size0
v_cmp_lt_u32 s[54:55], v11, s[sgprSizeJ]           // coord1 < size1
s_and_b64 s[54:55], s[52:53], s[54:55]             // in0 && in1
v_mul_lo_u32 v9, v9, s[sgprStrideD1J]              // coord1 element offset =  coord1 * StrideD
_v_add_lshl_u32 v9, v9, v10, 0x2                   // scale to BPE
v_cndmask_b32 v9, -1, v9, s[54:55]                 // clip if OOB. offset
_buffer_store_b128 v[12:15], v9, s[sgprSrdD:sgprSrdD+3], 0, offen, offset:0 // store D
s_waitcnt lgkmcnt(6)                               // wait for LDS read
_v_add_u32 v11, v5, 1                              // coord1 += nColPerLoad
_v_add_u32 v10, v4, 0                              // coord0 += element index of load vector
_v_add_u32 v9, v6, 1                               // offset coord1 += nColPerLoad
v_cmp_lt_u32 s[52:53], v10, s[sgprSizeI]           // coord0 < size0
v_cmp_lt_u32 s[54:55], v11, s[sgprSizeJ]           // coord1 < size1
s_and_b64 s[54:55], s[52:53], s[54:55]             // in0 && in1
v_mul_lo_u32 v9, v9, s[sgprStrideD1J]              // coord1 element offset =  coord1 * StrideD
_v_add_lshl_u32 v9, v9, v10, 0x2                   // scale to BPE
v_cndmask_b32 v9, -1, v9, s[54:55]                 // clip if OOB. offset
_buffer_store_b128 v[16:19], v9, s[sgprSrdD:sgprSrdD+3], 0, offen, offset:0 // store D
	;; [unrolled: 11-line block ×8, first 2 shown]

s_barrier //wait all lds read finished
s_nop 0                                            // 1 wait state required when next inst writes vgprs held by previous dwordx4 store inst
/* optSingleColVgpr=0 optSharedColVgpr=0 optSGPRUsage=BufferLoad_Edge_Mask optSrdIncForRow=1 */

/******************************************/
/* Global Write Alpha Edge Batch #6 (d1,d0,vc1,vc0) = */
/*    (6,0,0,0:vw4); (6,1,0,0:vw4); (6,2,0,0:vw4); (6,3,0,0:vw4); (6,4,0,0:vw4); (6,5,0,0:vw4); (6,6,0,0:vw4); (6,7,0,0:vw4) */
/******************************************/

/* calc coords, apply mask, and issue loads (if necessary) */
/* (d1,vc1,d0,vc0)=(6,0,0,0) */
_v_add_co_u32 v1, vcc, v1, 32                      // coord1.1: coord1Vgpr += d1*sg1*VW + vc1
_v_add_lshl_u32 v9, v3, v0, 0x2                    // scaleToBpe: accumulate d0 lower and *= bpe into Cin addr
/* (d1,vc1,d0,vc0)=(6,0,1,0) */
_v_add_co_u32 v10, vcc, v0, 8                      // coord0.1: coord0 += d0*sg0*VW + vc0
_v_add_lshl_u32 v16, v3, v10, 0x2                  // scaleToBpe: accumulate d0 lower and *= bpe into Cin addr
/* (d1,vc1,d0,vc0)=(6,0,2,0) */
_v_add_co_u32 v10, vcc, v0, 16                     // coord0.1: coord0 += d0*sg0*VW + vc0
_v_add_lshl_u32 v17, v3, v10, 0x2                  // scaleToBpe: accumulate d0 lower and *= bpe into Cin addr
/* (d1,vc1,d0,vc0)=(6,0,3,0) */
_v_add_co_u32 v10, vcc, v0, 24                     // coord0.1: coord0 += d0*sg0*VW + vc0
_v_add_lshl_u32 v18, v3, v10, 0x2                  // scaleToBpe: accumulate d0 lower and *= bpe into Cin addr
/* (d1,vc1,d0,vc0)=(6,0,4,0) */
s_mov_b32 s52, 128                                 // coordOffset0 d0=4 vc0=0
_v_add_co_u32 v10, vcc, v0, s52                    // coord0.2: coord0 += d0*sg0*VW + vc0
_v_add_lshl_u32 v19, v3, v10, 0x2                  // scaleToBpe: accumulate d0 lower and *= bpe into Cin addr
/* (d1,vc1,d0,vc0)=(6,0,5,0) */
s_mov_b32 s52, 136                                 // coordOffset0 d0=5 vc0=0
_v_add_co_u32 v10, vcc, v0, s52                    // coord0.2: coord0 += d0*sg0*VW + vc0
	;; [unrolled: 4-line block ×4, first 2 shown]
_v_add_lshl_u32 v38, v3, v10, 0x2                  // scaleToBpe: accumulate d0 lower and *= bpe into Cin addr
v_accvgpr_read_b32 v[vgprValuC+12], acc192 // copy acc to vreg[192]
v_accvgpr_read_b32 v[vgprValuC+13], acc193 // copy acc to vreg[193]
v_accvgpr_read_b32 v[vgprValuC+14], acc194 // copy acc to vreg[194]
v_accvgpr_read_b32 v[vgprValuC+15], acc195 // copy acc to vreg[195]
v_accvgpr_read_b32 v[vgprValuC+20], acc196 // copy acc to vreg[196]
v_accvgpr_read_b32 v[vgprValuC+21], acc197 // copy acc to vreg[197]
v_accvgpr_read_b32 v[vgprValuC+22], acc198 // copy acc to vreg[198]
v_accvgpr_read_b32 v[vgprValuC+23], acc199 // copy acc to vreg[199]
v_accvgpr_read_b32 v[vgprValuC+24], acc200 // copy acc to vreg[200]
v_accvgpr_read_b32 v[vgprValuC+25], acc201 // copy acc to vreg[201]
v_accvgpr_read_b32 v[vgprValuC+26], acc202 // copy acc to vreg[202]
v_accvgpr_read_b32 v[vgprValuC+27], acc203 // copy acc to vreg[203]
v_accvgpr_read_b32 v[vgprValuC+28], acc204 // copy acc to vreg[204]
v_accvgpr_read_b32 v[vgprValuC+29], acc205 // copy acc to vreg[205]
v_accvgpr_read_b32 v[vgprValuC+30], acc206 // copy acc to vreg[206]
v_accvgpr_read_b32 v[vgprValuC+31], acc207 // copy acc to vreg[207]
v_accvgpr_read_b32 v[vgprValuC+32], acc208 // copy acc to vreg[208]
v_accvgpr_read_b32 v[vgprValuC+33], acc209 // copy acc to vreg[209]
v_accvgpr_read_b32 v[vgprValuC+34], acc210 // copy acc to vreg[210]
v_accvgpr_read_b32 v[vgprValuC+35], acc211 // copy acc to vreg[211]
v_accvgpr_read_b32 v[vgprValuC+40], acc212 // copy acc to vreg[212]
v_accvgpr_read_b32 v[vgprValuC+41], acc213 // copy acc to vreg[213]
v_accvgpr_read_b32 v[vgprValuC+42], acc214 // copy acc to vreg[214]
v_accvgpr_read_b32 v[vgprValuC+43], acc215 // copy acc to vreg[215]
v_accvgpr_read_b32 v[vgprValuC+52], acc216 // copy acc to vreg[216]
v_accvgpr_read_b32 v[vgprValuC+53], acc217 // copy acc to vreg[217]
v_accvgpr_read_b32 v[vgprValuC+54], acc218 // copy acc to vreg[218]
v_accvgpr_read_b32 v[vgprValuC+55], acc219 // copy acc to vreg[219]
v_accvgpr_read_b32 v[vgprValuC+56], acc220 // copy acc to vreg[220]
v_accvgpr_read_b32 v[vgprValuC+57], acc221 // copy acc to vreg[221]
v_accvgpr_read_b32 v[vgprValuC+58], acc222 // copy acc to vreg[222]
v_accvgpr_read_b32 v[vgprValuC+59], acc223 // copy acc to vreg[223]
s_nop 1                                            // 2 wait states required before reading vgpr

/* rC *= alpha batchElements=[(6, 0, 0, 0), (6, 1, 0, 0), (6, 2, 0, 0), (6, 3, 0, 0), (6, 4, 0, 0), (6, 5, 0, 0), (6, 6, 0, 0), (6, 7, 0, 0)] */
v_mul_lo_u32 v[vgprValuC+12], s[sgprAlpha], v[vgprValuC+12] // *= alpha
v_mul_lo_u32 v[vgprValuC+13], s[sgprAlpha], v[vgprValuC+13] // *= alpha
	;; [unrolled: 1-line block ×32, first 2 shown]

/* apply mask, calc new C and issue writes */

/* StoreRemap: shift coord1 address */
s_mul_i32 s52, s[sgprStrideD1J], 128               // scale StrideD *= numRows(32) * bpe
s_add_u32  s[sgprSrdD+0], s[sgprSrdD+0], s52       // incToNextRow: gra SRD += inc(lower)
s_addc_u32  s[sgprSrdD+1], s[sgprSrdD+1], 0        // incToNextRow: gra SRD += inc(upper)
v_mov_b32 v10, 32                                  // set shift rows
_v_add_u32 v5, v5, v10                             // shift storeRemap coord1
_ds_store_b128 v7, v[12:15], offset:0              // storeRemap lw
_ds_store_b128 v7, v[20:23], offset:32             // storeRemap lw
_ds_store_b128 v7, v[24:27], offset:64             // storeRemap lw
	;; [unrolled: 1-line block ×3, first 2 shown]
_ds_store_b128 v7, v[32:35], offset:512            // storeRemap lw
_ds_store_b128 v7, v[40:43], offset:544            // storeRemap lw
	;; [unrolled: 1-line block ×4, first 2 shown]

/* Handle local read and global write */
s_waitcnt lgkmcnt(0)                               // wait for LDS write
s_barrier //wait all lds write finished

_ds_load_b128 v[12:15], v8, offset:0               // storeRemap lr
_ds_load_b128 v[16:19], v8, offset:1040            // storeRemap lr
_ds_load_b128 v[20:23], v8, offset:2080            // storeRemap lr
	;; [unrolled: 1-line block ×7, first 2 shown]

s_waitcnt lgkmcnt(7)                               // wait for LDS read
_v_add_u32 v11, v5, 0                              // coord1 += nColPerLoad
_v_add_u32 v10, v4, 0                              // coord0 += element index of load vector
_v_add_u32 v9, v6, 0                               // offset coord1 += nColPerLoad
v_cmp_lt_u32 s[52:53], v10, s[sgprSizeI]           // coord0 < size0
v_cmp_lt_u32 s[54:55], v11, s[sgprSizeJ]           // coord1 < size1
s_and_b64 s[54:55], s[52:53], s[54:55]             // in0 && in1
v_mul_lo_u32 v9, v9, s[sgprStrideD1J]              // coord1 element offset =  coord1 * StrideD
_v_add_lshl_u32 v9, v9, v10, 0x2                   // scale to BPE
v_cndmask_b32 v9, -1, v9, s[54:55]                 // clip if OOB. offset
_buffer_store_b128 v[12:15], v9, s[sgprSrdD:sgprSrdD+3], 0, offen, offset:0 // store D
s_waitcnt lgkmcnt(6)                               // wait for LDS read
_v_add_u32 v11, v5, 1                              // coord1 += nColPerLoad
_v_add_u32 v10, v4, 0                              // coord0 += element index of load vector
_v_add_u32 v9, v6, 1                               // offset coord1 += nColPerLoad
v_cmp_lt_u32 s[52:53], v10, s[sgprSizeI]           // coord0 < size0
v_cmp_lt_u32 s[54:55], v11, s[sgprSizeJ]           // coord1 < size1
s_and_b64 s[54:55], s[52:53], s[54:55]             // in0 && in1
v_mul_lo_u32 v9, v9, s[sgprStrideD1J]              // coord1 element offset =  coord1 * StrideD
_v_add_lshl_u32 v9, v9, v10, 0x2                   // scale to BPE
v_cndmask_b32 v9, -1, v9, s[54:55]                 // clip if OOB. offset
_buffer_store_b128 v[16:19], v9, s[sgprSrdD:sgprSrdD+3], 0, offen, offset:0 // store D
	;; [unrolled: 11-line block ×8, first 2 shown]

s_barrier //wait all lds read finished
s_nop 0                                            // 1 wait state required when next inst writes vgprs held by previous dwordx4 store inst
/* optSingleColVgpr=0 optSharedColVgpr=0 optSGPRUsage=BufferLoad_Edge_Mask optSrdIncForRow=1 */

/******************************************/
/* Global Write Alpha Edge Batch #7 (d1,d0,vc1,vc0) = */
/*    (7,0,0,0:vw4); (7,1,0,0:vw4); (7,2,0,0:vw4); (7,3,0,0:vw4); (7,4,0,0:vw4); (7,5,0,0:vw4); (7,6,0,0:vw4); (7,7,0,0:vw4) */
/******************************************/

/* calc coords, apply mask, and issue loads (if necessary) */
/* (d1,vc1,d0,vc0)=(7,0,0,0) */
_v_add_co_u32 v1, vcc, v1, 32                      // coord1.1: coord1Vgpr += d1*sg1*VW + vc1
_v_add_lshl_u32 v9, v3, v0, 0x2                    // scaleToBpe: accumulate d0 lower and *= bpe into Cin addr
/* (d1,vc1,d0,vc0)=(7,0,1,0) */
_v_add_co_u32 v10, vcc, v0, 8                      // coord0.1: coord0 += d0*sg0*VW + vc0
_v_add_lshl_u32 v16, v3, v10, 0x2                  // scaleToBpe: accumulate d0 lower and *= bpe into Cin addr
/* (d1,vc1,d0,vc0)=(7,0,2,0) */
_v_add_co_u32 v10, vcc, v0, 16                     // coord0.1: coord0 += d0*sg0*VW + vc0
_v_add_lshl_u32 v17, v3, v10, 0x2                  // scaleToBpe: accumulate d0 lower and *= bpe into Cin addr
/* (d1,vc1,d0,vc0)=(7,0,3,0) */
_v_add_co_u32 v10, vcc, v0, 24                     // coord0.1: coord0 += d0*sg0*VW + vc0
_v_add_lshl_u32 v18, v3, v10, 0x2                  // scaleToBpe: accumulate d0 lower and *= bpe into Cin addr
/* (d1,vc1,d0,vc0)=(7,0,4,0) */
s_mov_b32 s52, 128                                 // coordOffset0 d0=4 vc0=0
_v_add_co_u32 v10, vcc, v0, s52                    // coord0.2: coord0 += d0*sg0*VW + vc0
_v_add_lshl_u32 v19, v3, v10, 0x2                  // scaleToBpe: accumulate d0 lower and *= bpe into Cin addr
/* (d1,vc1,d0,vc0)=(7,0,5,0) */
s_mov_b32 s52, 136                                 // coordOffset0 d0=5 vc0=0
_v_add_co_u32 v10, vcc, v0, s52                    // coord0.2: coord0 += d0*sg0*VW + vc0
	;; [unrolled: 4-line block ×4, first 2 shown]
_v_add_lshl_u32 v38, v3, v10, 0x2                  // scaleToBpe: accumulate d0 lower and *= bpe into Cin addr
v_accvgpr_read_b32 v[vgprValuC+12], acc224 // copy acc to vreg[224]
v_accvgpr_read_b32 v[vgprValuC+13], acc225 // copy acc to vreg[225]
v_accvgpr_read_b32 v[vgprValuC+14], acc226 // copy acc to vreg[226]
v_accvgpr_read_b32 v[vgprValuC+15], acc227 // copy acc to vreg[227]
v_accvgpr_read_b32 v[vgprValuC+20], acc228 // copy acc to vreg[228]
v_accvgpr_read_b32 v[vgprValuC+21], acc229 // copy acc to vreg[229]
v_accvgpr_read_b32 v[vgprValuC+22], acc230 // copy acc to vreg[230]
v_accvgpr_read_b32 v[vgprValuC+23], acc231 // copy acc to vreg[231]
v_accvgpr_read_b32 v[vgprValuC+24], acc232 // copy acc to vreg[232]
v_accvgpr_read_b32 v[vgprValuC+25], acc233 // copy acc to vreg[233]
v_accvgpr_read_b32 v[vgprValuC+26], acc234 // copy acc to vreg[234]
v_accvgpr_read_b32 v[vgprValuC+27], acc235 // copy acc to vreg[235]
v_accvgpr_read_b32 v[vgprValuC+28], acc236 // copy acc to vreg[236]
v_accvgpr_read_b32 v[vgprValuC+29], acc237 // copy acc to vreg[237]
v_accvgpr_read_b32 v[vgprValuC+30], acc238 // copy acc to vreg[238]
v_accvgpr_read_b32 v[vgprValuC+31], acc239 // copy acc to vreg[239]
v_accvgpr_read_b32 v[vgprValuC+32], acc240 // copy acc to vreg[240]
v_accvgpr_read_b32 v[vgprValuC+33], acc241 // copy acc to vreg[241]
v_accvgpr_read_b32 v[vgprValuC+34], acc242 // copy acc to vreg[242]
v_accvgpr_read_b32 v[vgprValuC+35], acc243 // copy acc to vreg[243]
v_accvgpr_read_b32 v[vgprValuC+40], acc244 // copy acc to vreg[244]
v_accvgpr_read_b32 v[vgprValuC+41], acc245 // copy acc to vreg[245]
v_accvgpr_read_b32 v[vgprValuC+42], acc246 // copy acc to vreg[246]
v_accvgpr_read_b32 v[vgprValuC+43], acc247 // copy acc to vreg[247]
v_accvgpr_read_b32 v[vgprValuC+52], acc248 // copy acc to vreg[248]
v_accvgpr_read_b32 v[vgprValuC+53], acc249 // copy acc to vreg[249]
v_accvgpr_read_b32 v[vgprValuC+54], acc250 // copy acc to vreg[250]
v_accvgpr_read_b32 v[vgprValuC+55], acc251 // copy acc to vreg[251]
v_accvgpr_read_b32 v[vgprValuC+56], acc252 // copy acc to vreg[252]
v_accvgpr_read_b32 v[vgprValuC+57], acc253 // copy acc to vreg[253]
v_accvgpr_read_b32 v[vgprValuC+58], acc254 // copy acc to vreg[254]
v_accvgpr_read_b32 v[vgprValuC+59], acc255 // copy acc to vreg[255]
s_nop 1                                            // 2 wait states required before reading vgpr

/* rC *= alpha batchElements=[(7, 0, 0, 0), (7, 1, 0, 0), (7, 2, 0, 0), (7, 3, 0, 0), (7, 4, 0, 0), (7, 5, 0, 0), (7, 6, 0, 0), (7, 7, 0, 0)] */
v_mul_lo_u32 v[vgprValuC+12], s[sgprAlpha], v[vgprValuC+12] // *= alpha
v_mul_lo_u32 v[vgprValuC+13], s[sgprAlpha], v[vgprValuC+13] // *= alpha
	;; [unrolled: 1-line block ×32, first 2 shown]

/* apply mask, calc new C and issue writes */

/* StoreRemap: shift coord1 address */
s_mul_i32 s52, s[sgprStrideD1J], 128               // scale StrideD *= numRows(32) * bpe
s_add_u32  s[sgprSrdD+0], s[sgprSrdD+0], s52       // incToNextRow: gra SRD += inc(lower)
s_addc_u32  s[sgprSrdD+1], s[sgprSrdD+1], 0        // incToNextRow: gra SRD += inc(upper)
v_mov_b32 v10, 32                                  // set shift rows
_v_add_u32 v5, v5, v10                             // shift storeRemap coord1
_ds_store_b128 v7, v[12:15], offset:0              // storeRemap lw
_ds_store_b128 v7, v[20:23], offset:32             // storeRemap lw
_ds_store_b128 v7, v[24:27], offset:64             // storeRemap lw
	;; [unrolled: 1-line block ×3, first 2 shown]
_ds_store_b128 v7, v[32:35], offset:512            // storeRemap lw
_ds_store_b128 v7, v[40:43], offset:544            // storeRemap lw
	;; [unrolled: 1-line block ×4, first 2 shown]

/* Handle local read and global write */
s_waitcnt lgkmcnt(0)                               // wait for LDS write
s_barrier //wait all lds write finished

_ds_load_b128 v[12:15], v8, offset:0               // storeRemap lr
_ds_load_b128 v[16:19], v8, offset:1040            // storeRemap lr
_ds_load_b128 v[20:23], v8, offset:2080            // storeRemap lr
	;; [unrolled: 1-line block ×7, first 2 shown]

s_waitcnt lgkmcnt(7)                               // wait for LDS read
_v_add_u32 v11, v5, 0                              // coord1 += nColPerLoad
_v_add_u32 v10, v4, 0                              // coord0 += element index of load vector
_v_add_u32 v9, v6, 0                               // offset coord1 += nColPerLoad
v_cmp_lt_u32 s[52:53], v10, s[sgprSizeI]           // coord0 < size0
v_cmp_lt_u32 s[54:55], v11, s[sgprSizeJ]           // coord1 < size1
s_and_b64 s[54:55], s[52:53], s[54:55]             // in0 && in1
v_mul_lo_u32 v9, v9, s[sgprStrideD1J]              // coord1 element offset =  coord1 * StrideD
_v_add_lshl_u32 v9, v9, v10, 0x2                   // scale to BPE
v_cndmask_b32 v9, -1, v9, s[54:55]                 // clip if OOB. offset
_buffer_store_b128 v[12:15], v9, s[sgprSrdD:sgprSrdD+3], 0, offen, offset:0 // store D
s_waitcnt lgkmcnt(6)                               // wait for LDS read
_v_add_u32 v11, v5, 1                              // coord1 += nColPerLoad
_v_add_u32 v10, v4, 0                              // coord0 += element index of load vector
_v_add_u32 v9, v6, 1                               // offset coord1 += nColPerLoad
v_cmp_lt_u32 s[52:53], v10, s[sgprSizeI]           // coord0 < size0
v_cmp_lt_u32 s[54:55], v11, s[sgprSizeJ]           // coord1 < size1
s_and_b64 s[54:55], s[52:53], s[54:55]             // in0 && in1
v_mul_lo_u32 v9, v9, s[sgprStrideD1J]              // coord1 element offset =  coord1 * StrideD
_v_add_lshl_u32 v9, v9, v10, 0x2                   // scale to BPE
v_cndmask_b32 v9, -1, v9, s[54:55]                 // clip if OOB. offset
_buffer_store_b128 v[16:19], v9, s[sgprSrdD:sgprSrdD+3], 0, offen, offset:0 // store D
	;; [unrolled: 11-line block ×8, first 2 shown]

s_barrier //wait all lds read finished
s_nop 0                                            // 1 wait state required when next inst writes vgprs held by previous dwordx4 store inst
s_branch label_GW_End_178                          // jump to end
GW_Beta_179:
s_and_b32 s32, 255, s[sgprSizeI]                   // s32 = s[sgprSizeI] % 256
s_add_u32 s33, -0x1, s[sgprNumWorkGroups0]         // 
s_cmp_ge_u32 s[sgprWorkGroup0], s33                // wg0 >= nwg0-1 ?
s_cselect_b32 s32, s32, 0                          // set rMT0
s_cmpk_gt_u32 s32, 0x0                             // rMT0 > 0
s_cbranch_scc1 GW_B1_E1_177                        // jump if edges required
s_and_b32 s32, 255, s[sgprSizeJ]                   // s32 = s[sgprSizeJ] % 256
s_add_u32 s33, -0x1, s[sgprNumWorkGroups1]         // 
s_cmp_ge_u32 s[sgprWorkGroup1], s33                // wg1 >= nwg1-1
s_cselect_b32 s32, s32, 0                          // set rMT1
s_cmpk_gt_u32 s32, 0x0                             // rMT1 > 0
s_cbranch_scc1 GW_B1_E1_177                        // jump if edges required
GW_B1_E0_174:

/* edge=0, allocate 2 sgpr. perBatchTmpS=2 perBatchMaskS=0 perElementMaskS=0 elementsPerBatch=8 */
/* optSingleColVgpr=1 optSharedColVgpr=0 optSGPRUsage=BufferLoad_Mask optSrdIncForRow=1 */

/******************************************/
/* Global Write Alpha Beta Batch #0 (d1,d0,vc1,vc0) = */
/*    (0,0,0,0:vw4); (0,1,0,0:vw4); (0,2,0,0:vw4); (0,3,0,0:vw4); (0,4,0,0:vw4); (0,5,0,0:vw4); (0,6,0,0:vw4); (0,7,0,0:vw4) */
/******************************************/

/* calc coords, apply mask, and issue loads (if necessary) */
/* (d1,vc1,d0,vc0)=(0,0,0,0) */
_v_add_lshl_u32 v12, v2, v0, 0x2                   // optSingleColVgpr scaleToBpe: sharedAddrVgpr <- cinRowPtr + coord0, scaled by BPE. BSHERE:coord0=0, coord0Vgpr=0
_buffer_load_b128 v[16:19], v12, s[sgprSrdC:sgprSrdC+3], 0, offen offset:0 // load C for beta calc
/* (d1,vc1,d0,vc0)=(0,0,1,0) */
_buffer_load_b128 v[24:27], v12, s[sgprSrdC:sgprSrdC+3], 0, offen offset:32 // load C for beta calc
/* (d1,vc1,d0,vc0)=(0,0,2,0) */
	;; [unrolled: 2-line block ×7, first 2 shown]
_buffer_load_b128 v[80:83], v12, s[sgprSrdC:sgprSrdC+3], 0, offen offset:608 // load C for beta calc
_v_add_lshl_u32 v9, v3, v0, 0x2                    // optSingleColVgpr scaleToBpe: sharedAddrVgpr <- cinRowPtr + coord0, scaled by BPE. BSHERE:coord0=0, coord0Vgpr=0
v_accvgpr_read_b32 v[vgprValuC+20], acc0 // copy acc to vreg[0]
v_accvgpr_read_b32 v[vgprValuC+21], acc1 // copy acc to vreg[1]
v_accvgpr_read_b32 v[vgprValuC+22], acc2 // copy acc to vreg[2]
v_accvgpr_read_b32 v[vgprValuC+23], acc3 // copy acc to vreg[3]
v_accvgpr_read_b32 v[vgprValuC+28], acc4 // copy acc to vreg[4]
v_accvgpr_read_b32 v[vgprValuC+29], acc5 // copy acc to vreg[5]
v_accvgpr_read_b32 v[vgprValuC+30], acc6 // copy acc to vreg[6]
v_accvgpr_read_b32 v[vgprValuC+31], acc7 // copy acc to vreg[7]
v_accvgpr_read_b32 v[vgprValuC+36], acc8 // copy acc to vreg[8]
v_accvgpr_read_b32 v[vgprValuC+37], acc9 // copy acc to vreg[9]
v_accvgpr_read_b32 v[vgprValuC+38], acc10 // copy acc to vreg[10]
v_accvgpr_read_b32 v[vgprValuC+39], acc11 // copy acc to vreg[11]
v_accvgpr_read_b32 v[vgprValuC+52], acc12 // copy acc to vreg[12]
v_accvgpr_read_b32 v[vgprValuC+53], acc13 // copy acc to vreg[13]
v_accvgpr_read_b32 v[vgprValuC+54], acc14 // copy acc to vreg[14]
v_accvgpr_read_b32 v[vgprValuC+55], acc15 // copy acc to vreg[15]
v_accvgpr_read_b32 v[vgprValuC+60], acc16 // copy acc to vreg[16]
v_accvgpr_read_b32 v[vgprValuC+61], acc17 // copy acc to vreg[17]
v_accvgpr_read_b32 v[vgprValuC+62], acc18 // copy acc to vreg[18]
v_accvgpr_read_b32 v[vgprValuC+63], acc19 // copy acc to vreg[19]
v_accvgpr_read_b32 v[vgprValuC+68], acc20 // copy acc to vreg[20]
v_accvgpr_read_b32 v[vgprValuC+69], acc21 // copy acc to vreg[21]
v_accvgpr_read_b32 v[vgprValuC+70], acc22 // copy acc to vreg[22]
v_accvgpr_read_b32 v[vgprValuC+71], acc23 // copy acc to vreg[23]
v_accvgpr_read_b32 v[vgprValuC+76], acc24 // copy acc to vreg[24]
v_accvgpr_read_b32 v[vgprValuC+77], acc25 // copy acc to vreg[25]
v_accvgpr_read_b32 v[vgprValuC+78], acc26 // copy acc to vreg[26]
v_accvgpr_read_b32 v[vgprValuC+79], acc27 // copy acc to vreg[27]
v_accvgpr_read_b32 v[vgprValuC+84], acc28 // copy acc to vreg[28]
v_accvgpr_read_b32 v[vgprValuC+85], acc29 // copy acc to vreg[29]
v_accvgpr_read_b32 v[vgprValuC+86], acc30 // copy acc to vreg[30]
v_accvgpr_read_b32 v[vgprValuC+87], acc31 // copy acc to vreg[31]
s_nop 1                                            // 2 wait states required before reading vgpr

/* rC *= alpha batchElements=[(0, 0, 0, 0), (0, 1, 0, 0), (0, 2, 0, 0), (0, 3, 0, 0), (0, 4, 0, 0), (0, 5, 0, 0), (0, 6, 0, 0), (0, 7, 0, 0)] */
v_mul_lo_u32 v[vgprValuC+20], s[sgprAlpha], v[vgprValuC+20] // *= alpha
v_mul_lo_u32 v[vgprValuC+21], s[sgprAlpha], v[vgprValuC+21] // *= alpha
	;; [unrolled: 1-line block ×32, first 2 shown]

/* apply mask, calc new C and issue writes */

s_waitcnt vmcnt(7)                                 // wait C (interleaved) 7 = 8 - 0 + 0 - 1
v_mul_lo_u32 v16, s[sgprBeta], v16                 // C = C*beta
_v_add_u32 v[vgprValuC+20], v16, v[vgprValuC+20]   // finalSum = sum*alpha + C*beta
v_mul_lo_u32 v17, s[sgprBeta], v17                 // C = C*beta
_v_add_u32 v[vgprValuC+21], v17, v[vgprValuC+21]   // finalSum = sum*alpha + C*beta
	;; [unrolled: 2-line block ×4, first 2 shown]
_ds_store_b128 v7, v[20:23], offset:0              // storeRemap lw

s_waitcnt vmcnt(6)                                 // wait C (interleaved) 6 = 8 - 1 + 0 - 1
v_mul_lo_u32 v24, s[sgprBeta], v24                 // C = C*beta
_v_add_u32 v[vgprValuC+28], v24, v[vgprValuC+28]   // finalSum = sum*alpha + C*beta
v_mul_lo_u32 v25, s[sgprBeta], v25                 // C = C*beta
_v_add_u32 v[vgprValuC+29], v25, v[vgprValuC+29]   // finalSum = sum*alpha + C*beta
v_mul_lo_u32 v26, s[sgprBeta], v26                 // C = C*beta
_v_add_u32 v[vgprValuC+30], v26, v[vgprValuC+30]   // finalSum = sum*alpha + C*beta
v_mul_lo_u32 v27, s[sgprBeta], v27                 // C = C*beta
_v_add_u32 v[vgprValuC+31], v27, v[vgprValuC+31]   // finalSum = sum*alpha + C*beta
_ds_store_b128 v7, v[28:31], offset:32             // storeRemap lw

s_waitcnt vmcnt(5)                                 // wait C (interleaved) 5 = 8 - 2 + 0 - 1
v_mul_lo_u32 v32, s[sgprBeta], v32                 // C = C*beta
_v_add_u32 v[vgprValuC+36], v32, v[vgprValuC+36]   // finalSum = sum*alpha + C*beta
v_mul_lo_u32 v33, s[sgprBeta], v33                 // C = C*beta
_v_add_u32 v[vgprValuC+37], v33, v[vgprValuC+37]   // finalSum = sum*alpha + C*beta
v_mul_lo_u32 v34, s[sgprBeta], v34                 // C = C*beta
_v_add_u32 v[vgprValuC+38], v34, v[vgprValuC+38]   // finalSum = sum*alpha + C*beta
v_mul_lo_u32 v35, s[sgprBeta], v35                 // C = C*beta
_v_add_u32 v[vgprValuC+39], v35, v[vgprValuC+39]   // finalSum = sum*alpha + C*beta
_ds_store_b128 v7, v[36:39], offset:64             // storeRemap lw
	;; [unrolled: 11-line block ×3, first 2 shown]

s_waitcnt vmcnt(3)                                 // wait C (interleaved) 3 = 8 - 4 + 0 - 1
v_mul_lo_u32 v56, s[sgprBeta], v56                 // C = C*beta
_v_add_u32 v[vgprValuC+60], v56, v[vgprValuC+60]   // finalSum = sum*alpha + C*beta
v_mul_lo_u32 v57, s[sgprBeta], v57                 // C = C*beta
_v_add_u32 v[vgprValuC+61], v57, v[vgprValuC+61]   // finalSum = sum*alpha + C*beta
v_mul_lo_u32 v58, s[sgprBeta], v58                 // C = C*beta
_v_add_u32 v[vgprValuC+62], v58, v[vgprValuC+62]   // finalSum = sum*alpha + C*beta
v_mul_lo_u32 v59, s[sgprBeta], v59                 // C = C*beta
_v_add_u32 v[vgprValuC+63], v59, v[vgprValuC+63]   // finalSum = sum*alpha + C*beta
_ds_store_b128 v7, v[60:63], offset:512            // storeRemap lw

s_waitcnt vmcnt(2)                                 // wait C (interleaved) 2 = 8 - 5 + 0 - 1
v_mul_lo_u32 v64, s[sgprBeta], v64                 // C = C*beta
_v_add_u32 v[vgprValuC+68], v64, v[vgprValuC+68]   // finalSum = sum*alpha + C*beta
v_mul_lo_u32 v65, s[sgprBeta], v65                 // C = C*beta
_v_add_u32 v[vgprValuC+69], v65, v[vgprValuC+69]   // finalSum = sum*alpha + C*beta
v_mul_lo_u32 v66, s[sgprBeta], v66                 // C = C*beta
_v_add_u32 v[vgprValuC+70], v66, v[vgprValuC+70]   // finalSum = sum*alpha + C*beta
v_mul_lo_u32 v67, s[sgprBeta], v67                 // C = C*beta
_v_add_u32 v[vgprValuC+71], v67, v[vgprValuC+71]   // finalSum = sum*alpha + C*beta
_ds_store_b128 v7, v[68:71], offset:544            // storeRemap lw
	;; [unrolled: 11-line block ×4, first 2 shown]

/* Handle local read and global write */
s_waitcnt lgkmcnt(0)                               // wait for LDS write
s_barrier //wait all lds write finished

_ds_load_b128 v[16:19], v8, offset:0               // storeRemap lr
_ds_load_b128 v[20:23], v8, offset:1040            // storeRemap lr
_ds_load_b128 v[24:27], v8, offset:2080            // storeRemap lr
	;; [unrolled: 1-line block ×7, first 2 shown]

v_mov_b32 v13, v6                                  // coord1
v_mul_lo_u32 v13, v13, s[sgprStrideD1J]            // coord1 offset =  coord1 * StrideD
_v_add_lshl_u32 v13, v13, v4, 0x2                  // global write D address
s_waitcnt lgkmcnt(7)                               // wait for LDS read
_buffer_store_b128 v[16:19], v13, s[sgprSrdD:sgprSrdD+3], 0, offen, offset:0 // store D
_v_add_u32 v13, v6, 1                              // coord1 += nColPerLoad
v_mul_lo_u32 v13, v13, s[sgprStrideD1J]            // coord1 offset =  coord1 * StrideD
_v_add_lshl_u32 v13, v13, v4, 0x2                  // global write D address
s_waitcnt lgkmcnt(6)                               // wait for LDS read
_buffer_store_b128 v[20:23], v13, s[sgprSrdD:sgprSrdD+3], 0, offen, offset:0 // store D
_v_add_u32 v13, v6, 2                              // coord1 += nColPerLoad
	;; [unrolled: 5-line block ×7, first 2 shown]
v_mul_lo_u32 v13, v13, s[sgprStrideD1J]            // coord1 offset =  coord1 * StrideD
_v_add_lshl_u32 v13, v13, v4, 0x2                  // global write D address
s_waitcnt lgkmcnt(0)                               // wait for LDS read
_buffer_store_b128 v[52:55], v13, s[sgprSrdD:sgprSrdD+3], 0, offen, offset:0 // store D

s_barrier //wait all lds read finished
s_nop 0                                            // 1 wait state required when next inst writes vgprs held by previous dwordx4 store inst
/* optSingleColVgpr=1 optSharedColVgpr=0 optSGPRUsage=BufferLoad_Mask optSrdIncForRow=1 */

/******************************************/
/* Global Write Alpha Beta Batch #1 (d1,d0,vc1,vc0) = */
/*    (1,0,0,0:vw4); (1,1,0,0:vw4); (1,2,0,0:vw4); (1,3,0,0:vw4); (1,4,0,0:vw4); (1,5,0,0:vw4); (1,6,0,0:vw4); (1,7,0,0:vw4) */
/******************************************/

/* calc coords, apply mask, and issue loads (if necessary) */
/* (d1,vc1,d0,vc0)=(1,0,0,0) */
s_mul_i32 s32, s[sgprStrideC1J], 128               // scale StrideC *= numRows(32) * bpe
s_add_u32  s[sgprSrdC+0], s[sgprSrdC+0], s32       // incToNextRow: gra SRD += inc(lower)
s_addc_u32  s[sgprSrdC+1], s[sgprSrdC+1], 0        // incToNextRow: gra SRD += inc(upper)
_buffer_load_b128 v[16:19], v12, s[sgprSrdC:sgprSrdC+3], 0, offen offset:0 // load C for beta calc
/* (d1,vc1,d0,vc0)=(1,0,1,0) */
_buffer_load_b128 v[24:27], v12, s[sgprSrdC:sgprSrdC+3], 0, offen offset:32 // load C for beta calc
/* (d1,vc1,d0,vc0)=(1,0,2,0) */
	;; [unrolled: 2-line block ×7, first 2 shown]
_buffer_load_b128 v[80:83], v12, s[sgprSrdC:sgprSrdC+3], 0, offen offset:608 // load C for beta calc
v_accvgpr_read_b32 v[vgprValuC+20], acc32 // copy acc to vreg[32]
v_accvgpr_read_b32 v[vgprValuC+21], acc33 // copy acc to vreg[33]
v_accvgpr_read_b32 v[vgprValuC+22], acc34 // copy acc to vreg[34]
v_accvgpr_read_b32 v[vgprValuC+23], acc35 // copy acc to vreg[35]
v_accvgpr_read_b32 v[vgprValuC+28], acc36 // copy acc to vreg[36]
v_accvgpr_read_b32 v[vgprValuC+29], acc37 // copy acc to vreg[37]
v_accvgpr_read_b32 v[vgprValuC+30], acc38 // copy acc to vreg[38]
v_accvgpr_read_b32 v[vgprValuC+31], acc39 // copy acc to vreg[39]
v_accvgpr_read_b32 v[vgprValuC+36], acc40 // copy acc to vreg[40]
v_accvgpr_read_b32 v[vgprValuC+37], acc41 // copy acc to vreg[41]
v_accvgpr_read_b32 v[vgprValuC+38], acc42 // copy acc to vreg[42]
v_accvgpr_read_b32 v[vgprValuC+39], acc43 // copy acc to vreg[43]
v_accvgpr_read_b32 v[vgprValuC+52], acc44 // copy acc to vreg[44]
v_accvgpr_read_b32 v[vgprValuC+53], acc45 // copy acc to vreg[45]
v_accvgpr_read_b32 v[vgprValuC+54], acc46 // copy acc to vreg[46]
v_accvgpr_read_b32 v[vgprValuC+55], acc47 // copy acc to vreg[47]
v_accvgpr_read_b32 v[vgprValuC+60], acc48 // copy acc to vreg[48]
v_accvgpr_read_b32 v[vgprValuC+61], acc49 // copy acc to vreg[49]
v_accvgpr_read_b32 v[vgprValuC+62], acc50 // copy acc to vreg[50]
v_accvgpr_read_b32 v[vgprValuC+63], acc51 // copy acc to vreg[51]
v_accvgpr_read_b32 v[vgprValuC+68], acc52 // copy acc to vreg[52]
v_accvgpr_read_b32 v[vgprValuC+69], acc53 // copy acc to vreg[53]
v_accvgpr_read_b32 v[vgprValuC+70], acc54 // copy acc to vreg[54]
v_accvgpr_read_b32 v[vgprValuC+71], acc55 // copy acc to vreg[55]
v_accvgpr_read_b32 v[vgprValuC+76], acc56 // copy acc to vreg[56]
v_accvgpr_read_b32 v[vgprValuC+77], acc57 // copy acc to vreg[57]
v_accvgpr_read_b32 v[vgprValuC+78], acc58 // copy acc to vreg[58]
v_accvgpr_read_b32 v[vgprValuC+79], acc59 // copy acc to vreg[59]
v_accvgpr_read_b32 v[vgprValuC+84], acc60 // copy acc to vreg[60]
v_accvgpr_read_b32 v[vgprValuC+85], acc61 // copy acc to vreg[61]
v_accvgpr_read_b32 v[vgprValuC+86], acc62 // copy acc to vreg[62]
v_accvgpr_read_b32 v[vgprValuC+87], acc63 // copy acc to vreg[63]
s_nop 1                                            // 2 wait states required before reading vgpr

/* rC *= alpha batchElements=[(1, 0, 0, 0), (1, 1, 0, 0), (1, 2, 0, 0), (1, 3, 0, 0), (1, 4, 0, 0), (1, 5, 0, 0), (1, 6, 0, 0), (1, 7, 0, 0)] */
v_mul_lo_u32 v[vgprValuC+20], s[sgprAlpha], v[vgprValuC+20] // *= alpha
v_mul_lo_u32 v[vgprValuC+21], s[sgprAlpha], v[vgprValuC+21] // *= alpha
	;; [unrolled: 1-line block ×32, first 2 shown]

/* apply mask, calc new C and issue writes */

/* StoreRemap: shift coord1 address */
s_mul_i32 s32, s[sgprStrideD1J], 128               // scale StrideD *= numRows(32) * bpe
s_add_u32  s[sgprSrdD+0], s[sgprSrdD+0], s32       // incToNextRow: gra SRD += inc(lower)
s_addc_u32  s[sgprSrdD+1], s[sgprSrdD+1], 0        // incToNextRow: gra SRD += inc(upper)
v_mov_b32 v10, 32                                  // set shift rows
_v_add_u32 v5, v5, v10                             // shift storeRemap coord1

s_waitcnt vmcnt(7)                                 // wait C (interleaved) 7 = 8 - 0 + 0 - 1
v_mul_lo_u32 v16, s[sgprBeta], v16                 // C = C*beta
_v_add_u32 v[vgprValuC+20], v16, v[vgprValuC+20]   // finalSum = sum*alpha + C*beta
v_mul_lo_u32 v17, s[sgprBeta], v17                 // C = C*beta
_v_add_u32 v[vgprValuC+21], v17, v[vgprValuC+21]   // finalSum = sum*alpha + C*beta
v_mul_lo_u32 v18, s[sgprBeta], v18                 // C = C*beta
_v_add_u32 v[vgprValuC+22], v18, v[vgprValuC+22]   // finalSum = sum*alpha + C*beta
v_mul_lo_u32 v19, s[sgprBeta], v19                 // C = C*beta
_v_add_u32 v[vgprValuC+23], v19, v[vgprValuC+23]   // finalSum = sum*alpha + C*beta
_ds_store_b128 v7, v[20:23], offset:0              // storeRemap lw

s_waitcnt vmcnt(6)                                 // wait C (interleaved) 6 = 8 - 1 + 0 - 1
v_mul_lo_u32 v24, s[sgprBeta], v24                 // C = C*beta
_v_add_u32 v[vgprValuC+28], v24, v[vgprValuC+28]   // finalSum = sum*alpha + C*beta
v_mul_lo_u32 v25, s[sgprBeta], v25                 // C = C*beta
_v_add_u32 v[vgprValuC+29], v25, v[vgprValuC+29]   // finalSum = sum*alpha + C*beta
v_mul_lo_u32 v26, s[sgprBeta], v26                 // C = C*beta
_v_add_u32 v[vgprValuC+30], v26, v[vgprValuC+30]   // finalSum = sum*alpha + C*beta
v_mul_lo_u32 v27, s[sgprBeta], v27                 // C = C*beta
_v_add_u32 v[vgprValuC+31], v27, v[vgprValuC+31]   // finalSum = sum*alpha + C*beta
_ds_store_b128 v7, v[28:31], offset:32             // storeRemap lw

s_waitcnt vmcnt(5)                                 // wait C (interleaved) 5 = 8 - 2 + 0 - 1
v_mul_lo_u32 v32, s[sgprBeta], v32                 // C = C*beta
_v_add_u32 v[vgprValuC+36], v32, v[vgprValuC+36]   // finalSum = sum*alpha + C*beta
v_mul_lo_u32 v33, s[sgprBeta], v33                 // C = C*beta
_v_add_u32 v[vgprValuC+37], v33, v[vgprValuC+37]   // finalSum = sum*alpha + C*beta
v_mul_lo_u32 v34, s[sgprBeta], v34                 // C = C*beta
_v_add_u32 v[vgprValuC+38], v34, v[vgprValuC+38]   // finalSum = sum*alpha + C*beta
v_mul_lo_u32 v35, s[sgprBeta], v35                 // C = C*beta
_v_add_u32 v[vgprValuC+39], v35, v[vgprValuC+39]   // finalSum = sum*alpha + C*beta
_ds_store_b128 v7, v[36:39], offset:64             // storeRemap lw
	;; [unrolled: 11-line block ×3, first 2 shown]

s_waitcnt vmcnt(3)                                 // wait C (interleaved) 3 = 8 - 4 + 0 - 1
v_mul_lo_u32 v56, s[sgprBeta], v56                 // C = C*beta
_v_add_u32 v[vgprValuC+60], v56, v[vgprValuC+60]   // finalSum = sum*alpha + C*beta
v_mul_lo_u32 v57, s[sgprBeta], v57                 // C = C*beta
_v_add_u32 v[vgprValuC+61], v57, v[vgprValuC+61]   // finalSum = sum*alpha + C*beta
v_mul_lo_u32 v58, s[sgprBeta], v58                 // C = C*beta
_v_add_u32 v[vgprValuC+62], v58, v[vgprValuC+62]   // finalSum = sum*alpha + C*beta
v_mul_lo_u32 v59, s[sgprBeta], v59                 // C = C*beta
_v_add_u32 v[vgprValuC+63], v59, v[vgprValuC+63]   // finalSum = sum*alpha + C*beta
_ds_store_b128 v7, v[60:63], offset:512            // storeRemap lw

s_waitcnt vmcnt(2)                                 // wait C (interleaved) 2 = 8 - 5 + 0 - 1
v_mul_lo_u32 v64, s[sgprBeta], v64                 // C = C*beta
_v_add_u32 v[vgprValuC+68], v64, v[vgprValuC+68]   // finalSum = sum*alpha + C*beta
v_mul_lo_u32 v65, s[sgprBeta], v65                 // C = C*beta
_v_add_u32 v[vgprValuC+69], v65, v[vgprValuC+69]   // finalSum = sum*alpha + C*beta
v_mul_lo_u32 v66, s[sgprBeta], v66                 // C = C*beta
_v_add_u32 v[vgprValuC+70], v66, v[vgprValuC+70]   // finalSum = sum*alpha + C*beta
v_mul_lo_u32 v67, s[sgprBeta], v67                 // C = C*beta
_v_add_u32 v[vgprValuC+71], v67, v[vgprValuC+71]   // finalSum = sum*alpha + C*beta
_ds_store_b128 v7, v[68:71], offset:544            // storeRemap lw
	;; [unrolled: 11-line block ×4, first 2 shown]

/* Handle local read and global write */
s_waitcnt lgkmcnt(0)                               // wait for LDS write
s_barrier //wait all lds write finished

_ds_load_b128 v[16:19], v8, offset:0               // storeRemap lr
_ds_load_b128 v[20:23], v8, offset:1040            // storeRemap lr
_ds_load_b128 v[24:27], v8, offset:2080            // storeRemap lr
	;; [unrolled: 1-line block ×7, first 2 shown]

v_mov_b32 v13, v6                                  // coord1
v_mul_lo_u32 v13, v13, s[sgprStrideD1J]            // coord1 offset =  coord1 * StrideD
_v_add_lshl_u32 v13, v13, v4, 0x2                  // global write D address
s_waitcnt lgkmcnt(7)                               // wait for LDS read
_buffer_store_b128 v[16:19], v13, s[sgprSrdD:sgprSrdD+3], 0, offen, offset:0 // store D
_v_add_u32 v13, v6, 1                              // coord1 += nColPerLoad
v_mul_lo_u32 v13, v13, s[sgprStrideD1J]            // coord1 offset =  coord1 * StrideD
_v_add_lshl_u32 v13, v13, v4, 0x2                  // global write D address
s_waitcnt lgkmcnt(6)                               // wait for LDS read
_buffer_store_b128 v[20:23], v13, s[sgprSrdD:sgprSrdD+3], 0, offen, offset:0 // store D
_v_add_u32 v13, v6, 2                              // coord1 += nColPerLoad
	;; [unrolled: 5-line block ×7, first 2 shown]
v_mul_lo_u32 v13, v13, s[sgprStrideD1J]            // coord1 offset =  coord1 * StrideD
_v_add_lshl_u32 v13, v13, v4, 0x2                  // global write D address
s_waitcnt lgkmcnt(0)                               // wait for LDS read
_buffer_store_b128 v[52:55], v13, s[sgprSrdD:sgprSrdD+3], 0, offen, offset:0 // store D

s_barrier //wait all lds read finished
s_nop 0                                            // 1 wait state required when next inst writes vgprs held by previous dwordx4 store inst
/* optSingleColVgpr=1 optSharedColVgpr=0 optSGPRUsage=BufferLoad_Mask optSrdIncForRow=1 */

/******************************************/
/* Global Write Alpha Beta Batch #2 (d1,d0,vc1,vc0) = */
/*    (2,0,0,0:vw4); (2,1,0,0:vw4); (2,2,0,0:vw4); (2,3,0,0:vw4); (2,4,0,0:vw4); (2,5,0,0:vw4); (2,6,0,0:vw4); (2,7,0,0:vw4) */
/******************************************/

/* calc coords, apply mask, and issue loads (if necessary) */
/* (d1,vc1,d0,vc0)=(2,0,0,0) */
s_mul_i32 s32, s[sgprStrideC1J], 128               // scale StrideC *= numRows(32) * bpe
s_add_u32  s[sgprSrdC+0], s[sgprSrdC+0], s32       // incToNextRow: gra SRD += inc(lower)
s_addc_u32  s[sgprSrdC+1], s[sgprSrdC+1], 0        // incToNextRow: gra SRD += inc(upper)
_buffer_load_b128 v[16:19], v12, s[sgprSrdC:sgprSrdC+3], 0, offen offset:0 // load C for beta calc
/* (d1,vc1,d0,vc0)=(2,0,1,0) */
_buffer_load_b128 v[24:27], v12, s[sgprSrdC:sgprSrdC+3], 0, offen offset:32 // load C for beta calc
/* (d1,vc1,d0,vc0)=(2,0,2,0) */
_buffer_load_b128 v[32:35], v12, s[sgprSrdC:sgprSrdC+3], 0, offen offset:64 // load C for beta calc
/* (d1,vc1,d0,vc0)=(2,0,3,0) */
_buffer_load_b128 v[40:43], v12, s[sgprSrdC:sgprSrdC+3], 0, offen offset:96 // load C for beta calc
/* (d1,vc1,d0,vc0)=(2,0,4,0) */
_buffer_load_b128 v[56:59], v12, s[sgprSrdC:sgprSrdC+3], 0, offen offset:512 // load C for beta calc
/* (d1,vc1,d0,vc0)=(2,0,5,0) */
_buffer_load_b128 v[64:67], v12, s[sgprSrdC:sgprSrdC+3], 0, offen offset:544 // load C for beta calc
/* (d1,vc1,d0,vc0)=(2,0,6,0) */
_buffer_load_b128 v[72:75], v12, s[sgprSrdC:sgprSrdC+3], 0, offen offset:576 // load C for beta calc
/* (d1,vc1,d0,vc0)=(2,0,7,0) */
_buffer_load_b128 v[80:83], v12, s[sgprSrdC:sgprSrdC+3], 0, offen offset:608 // load C for beta calc
v_accvgpr_read_b32 v[vgprValuC+20], acc64 // copy acc to vreg[64]
v_accvgpr_read_b32 v[vgprValuC+21], acc65 // copy acc to vreg[65]
v_accvgpr_read_b32 v[vgprValuC+22], acc66 // copy acc to vreg[66]
v_accvgpr_read_b32 v[vgprValuC+23], acc67 // copy acc to vreg[67]
v_accvgpr_read_b32 v[vgprValuC+28], acc68 // copy acc to vreg[68]
v_accvgpr_read_b32 v[vgprValuC+29], acc69 // copy acc to vreg[69]
v_accvgpr_read_b32 v[vgprValuC+30], acc70 // copy acc to vreg[70]
v_accvgpr_read_b32 v[vgprValuC+31], acc71 // copy acc to vreg[71]
v_accvgpr_read_b32 v[vgprValuC+36], acc72 // copy acc to vreg[72]
v_accvgpr_read_b32 v[vgprValuC+37], acc73 // copy acc to vreg[73]
v_accvgpr_read_b32 v[vgprValuC+38], acc74 // copy acc to vreg[74]
v_accvgpr_read_b32 v[vgprValuC+39], acc75 // copy acc to vreg[75]
v_accvgpr_read_b32 v[vgprValuC+52], acc76 // copy acc to vreg[76]
v_accvgpr_read_b32 v[vgprValuC+53], acc77 // copy acc to vreg[77]
v_accvgpr_read_b32 v[vgprValuC+54], acc78 // copy acc to vreg[78]
v_accvgpr_read_b32 v[vgprValuC+55], acc79 // copy acc to vreg[79]
v_accvgpr_read_b32 v[vgprValuC+60], acc80 // copy acc to vreg[80]
v_accvgpr_read_b32 v[vgprValuC+61], acc81 // copy acc to vreg[81]
v_accvgpr_read_b32 v[vgprValuC+62], acc82 // copy acc to vreg[82]
v_accvgpr_read_b32 v[vgprValuC+63], acc83 // copy acc to vreg[83]
v_accvgpr_read_b32 v[vgprValuC+68], acc84 // copy acc to vreg[84]
v_accvgpr_read_b32 v[vgprValuC+69], acc85 // copy acc to vreg[85]
v_accvgpr_read_b32 v[vgprValuC+70], acc86 // copy acc to vreg[86]
v_accvgpr_read_b32 v[vgprValuC+71], acc87 // copy acc to vreg[87]
v_accvgpr_read_b32 v[vgprValuC+76], acc88 // copy acc to vreg[88]
v_accvgpr_read_b32 v[vgprValuC+77], acc89 // copy acc to vreg[89]
v_accvgpr_read_b32 v[vgprValuC+78], acc90 // copy acc to vreg[90]
v_accvgpr_read_b32 v[vgprValuC+79], acc91 // copy acc to vreg[91]
v_accvgpr_read_b32 v[vgprValuC+84], acc92 // copy acc to vreg[92]
v_accvgpr_read_b32 v[vgprValuC+85], acc93 // copy acc to vreg[93]
v_accvgpr_read_b32 v[vgprValuC+86], acc94 // copy acc to vreg[94]
v_accvgpr_read_b32 v[vgprValuC+87], acc95 // copy acc to vreg[95]
s_nop 1                                            // 2 wait states required before reading vgpr

/* rC *= alpha batchElements=[(2, 0, 0, 0), (2, 1, 0, 0), (2, 2, 0, 0), (2, 3, 0, 0), (2, 4, 0, 0), (2, 5, 0, 0), (2, 6, 0, 0), (2, 7, 0, 0)] */
v_mul_lo_u32 v[vgprValuC+20], s[sgprAlpha], v[vgprValuC+20] // *= alpha
v_mul_lo_u32 v[vgprValuC+21], s[sgprAlpha], v[vgprValuC+21] // *= alpha
v_mul_lo_u32 v[vgprValuC+22], s[sgprAlpha], v[vgprValuC+22] // *= alpha
v_mul_lo_u32 v[vgprValuC+23], s[sgprAlpha], v[vgprValuC+23] // *= alpha
v_mul_lo_u32 v[vgprValuC+28], s[sgprAlpha], v[vgprValuC+28] // *= alpha
v_mul_lo_u32 v[vgprValuC+29], s[sgprAlpha], v[vgprValuC+29] // *= alpha
v_mul_lo_u32 v[vgprValuC+30], s[sgprAlpha], v[vgprValuC+30] // *= alpha
v_mul_lo_u32 v[vgprValuC+31], s[sgprAlpha], v[vgprValuC+31] // *= alpha
v_mul_lo_u32 v[vgprValuC+36], s[sgprAlpha], v[vgprValuC+36] // *= alpha
v_mul_lo_u32 v[vgprValuC+37], s[sgprAlpha], v[vgprValuC+37] // *= alpha
v_mul_lo_u32 v[vgprValuC+38], s[sgprAlpha], v[vgprValuC+38] // *= alpha
v_mul_lo_u32 v[vgprValuC+39], s[sgprAlpha], v[vgprValuC+39] // *= alpha
v_mul_lo_u32 v[vgprValuC+52], s[sgprAlpha], v[vgprValuC+52] // *= alpha
v_mul_lo_u32 v[vgprValuC+53], s[sgprAlpha], v[vgprValuC+53] // *= alpha
v_mul_lo_u32 v[vgprValuC+54], s[sgprAlpha], v[vgprValuC+54] // *= alpha
v_mul_lo_u32 v[vgprValuC+55], s[sgprAlpha], v[vgprValuC+55] // *= alpha
v_mul_lo_u32 v[vgprValuC+60], s[sgprAlpha], v[vgprValuC+60] // *= alpha
v_mul_lo_u32 v[vgprValuC+61], s[sgprAlpha], v[vgprValuC+61] // *= alpha
v_mul_lo_u32 v[vgprValuC+62], s[sgprAlpha], v[vgprValuC+62] // *= alpha
v_mul_lo_u32 v[vgprValuC+63], s[sgprAlpha], v[vgprValuC+63] // *= alpha
v_mul_lo_u32 v[vgprValuC+68], s[sgprAlpha], v[vgprValuC+68] // *= alpha
v_mul_lo_u32 v[vgprValuC+69], s[sgprAlpha], v[vgprValuC+69] // *= alpha
v_mul_lo_u32 v[vgprValuC+70], s[sgprAlpha], v[vgprValuC+70] // *= alpha
v_mul_lo_u32 v[vgprValuC+71], s[sgprAlpha], v[vgprValuC+71] // *= alpha
v_mul_lo_u32 v[vgprValuC+76], s[sgprAlpha], v[vgprValuC+76] // *= alpha
v_mul_lo_u32 v[vgprValuC+77], s[sgprAlpha], v[vgprValuC+77] // *= alpha
v_mul_lo_u32 v[vgprValuC+78], s[sgprAlpha], v[vgprValuC+78] // *= alpha
v_mul_lo_u32 v[vgprValuC+79], s[sgprAlpha], v[vgprValuC+79] // *= alpha
v_mul_lo_u32 v[vgprValuC+84], s[sgprAlpha], v[vgprValuC+84] // *= alpha
v_mul_lo_u32 v[vgprValuC+85], s[sgprAlpha], v[vgprValuC+85] // *= alpha
v_mul_lo_u32 v[vgprValuC+86], s[sgprAlpha], v[vgprValuC+86] // *= alpha
v_mul_lo_u32 v[vgprValuC+87], s[sgprAlpha], v[vgprValuC+87] // *= alpha

/* apply mask, calc new C and issue writes */

/* StoreRemap: shift coord1 address */
s_mul_i32 s32, s[sgprStrideD1J], 128               // scale StrideD *= numRows(32) * bpe
s_add_u32  s[sgprSrdD+0], s[sgprSrdD+0], s32       // incToNextRow: gra SRD += inc(lower)
s_addc_u32  s[sgprSrdD+1], s[sgprSrdD+1], 0        // incToNextRow: gra SRD += inc(upper)
v_mov_b32 v10, 32                                  // set shift rows
_v_add_u32 v5, v5, v10                             // shift storeRemap coord1

s_waitcnt vmcnt(7)                                 // wait C (interleaved) 7 = 8 - 0 + 0 - 1
v_mul_lo_u32 v16, s[sgprBeta], v16                 // C = C*beta
_v_add_u32 v[vgprValuC+20], v16, v[vgprValuC+20]   // finalSum = sum*alpha + C*beta
v_mul_lo_u32 v17, s[sgprBeta], v17                 // C = C*beta
_v_add_u32 v[vgprValuC+21], v17, v[vgprValuC+21]   // finalSum = sum*alpha + C*beta
	;; [unrolled: 2-line block ×4, first 2 shown]
_ds_store_b128 v7, v[20:23], offset:0              // storeRemap lw

s_waitcnt vmcnt(6)                                 // wait C (interleaved) 6 = 8 - 1 + 0 - 1
v_mul_lo_u32 v24, s[sgprBeta], v24                 // C = C*beta
_v_add_u32 v[vgprValuC+28], v24, v[vgprValuC+28]   // finalSum = sum*alpha + C*beta
v_mul_lo_u32 v25, s[sgprBeta], v25                 // C = C*beta
_v_add_u32 v[vgprValuC+29], v25, v[vgprValuC+29]   // finalSum = sum*alpha + C*beta
v_mul_lo_u32 v26, s[sgprBeta], v26                 // C = C*beta
_v_add_u32 v[vgprValuC+30], v26, v[vgprValuC+30]   // finalSum = sum*alpha + C*beta
v_mul_lo_u32 v27, s[sgprBeta], v27                 // C = C*beta
_v_add_u32 v[vgprValuC+31], v27, v[vgprValuC+31]   // finalSum = sum*alpha + C*beta
_ds_store_b128 v7, v[28:31], offset:32             // storeRemap lw

s_waitcnt vmcnt(5)                                 // wait C (interleaved) 5 = 8 - 2 + 0 - 1
v_mul_lo_u32 v32, s[sgprBeta], v32                 // C = C*beta
_v_add_u32 v[vgprValuC+36], v32, v[vgprValuC+36]   // finalSum = sum*alpha + C*beta
v_mul_lo_u32 v33, s[sgprBeta], v33                 // C = C*beta
_v_add_u32 v[vgprValuC+37], v33, v[vgprValuC+37]   // finalSum = sum*alpha + C*beta
v_mul_lo_u32 v34, s[sgprBeta], v34                 // C = C*beta
_v_add_u32 v[vgprValuC+38], v34, v[vgprValuC+38]   // finalSum = sum*alpha + C*beta
v_mul_lo_u32 v35, s[sgprBeta], v35                 // C = C*beta
_v_add_u32 v[vgprValuC+39], v35, v[vgprValuC+39]   // finalSum = sum*alpha + C*beta
_ds_store_b128 v7, v[36:39], offset:64             // storeRemap lw
	;; [unrolled: 11-line block ×3, first 2 shown]

s_waitcnt vmcnt(3)                                 // wait C (interleaved) 3 = 8 - 4 + 0 - 1
v_mul_lo_u32 v56, s[sgprBeta], v56                 // C = C*beta
_v_add_u32 v[vgprValuC+60], v56, v[vgprValuC+60]   // finalSum = sum*alpha + C*beta
v_mul_lo_u32 v57, s[sgprBeta], v57                 // C = C*beta
_v_add_u32 v[vgprValuC+61], v57, v[vgprValuC+61]   // finalSum = sum*alpha + C*beta
v_mul_lo_u32 v58, s[sgprBeta], v58                 // C = C*beta
_v_add_u32 v[vgprValuC+62], v58, v[vgprValuC+62]   // finalSum = sum*alpha + C*beta
v_mul_lo_u32 v59, s[sgprBeta], v59                 // C = C*beta
_v_add_u32 v[vgprValuC+63], v59, v[vgprValuC+63]   // finalSum = sum*alpha + C*beta
_ds_store_b128 v7, v[60:63], offset:512            // storeRemap lw

s_waitcnt vmcnt(2)                                 // wait C (interleaved) 2 = 8 - 5 + 0 - 1
v_mul_lo_u32 v64, s[sgprBeta], v64                 // C = C*beta
_v_add_u32 v[vgprValuC+68], v64, v[vgprValuC+68]   // finalSum = sum*alpha + C*beta
v_mul_lo_u32 v65, s[sgprBeta], v65                 // C = C*beta
_v_add_u32 v[vgprValuC+69], v65, v[vgprValuC+69]   // finalSum = sum*alpha + C*beta
v_mul_lo_u32 v66, s[sgprBeta], v66                 // C = C*beta
_v_add_u32 v[vgprValuC+70], v66, v[vgprValuC+70]   // finalSum = sum*alpha + C*beta
v_mul_lo_u32 v67, s[sgprBeta], v67                 // C = C*beta
_v_add_u32 v[vgprValuC+71], v67, v[vgprValuC+71]   // finalSum = sum*alpha + C*beta
_ds_store_b128 v7, v[68:71], offset:544            // storeRemap lw
	;; [unrolled: 11-line block ×4, first 2 shown]

/* Handle local read and global write */
s_waitcnt lgkmcnt(0)                               // wait for LDS write
s_barrier //wait all lds write finished

_ds_load_b128 v[16:19], v8, offset:0               // storeRemap lr
_ds_load_b128 v[20:23], v8, offset:1040            // storeRemap lr
_ds_load_b128 v[24:27], v8, offset:2080            // storeRemap lr
	;; [unrolled: 1-line block ×7, first 2 shown]

v_mov_b32 v13, v6                                  // coord1
v_mul_lo_u32 v13, v13, s[sgprStrideD1J]            // coord1 offset =  coord1 * StrideD
_v_add_lshl_u32 v13, v13, v4, 0x2                  // global write D address
s_waitcnt lgkmcnt(7)                               // wait for LDS read
_buffer_store_b128 v[16:19], v13, s[sgprSrdD:sgprSrdD+3], 0, offen, offset:0 // store D
_v_add_u32 v13, v6, 1                              // coord1 += nColPerLoad
v_mul_lo_u32 v13, v13, s[sgprStrideD1J]            // coord1 offset =  coord1 * StrideD
_v_add_lshl_u32 v13, v13, v4, 0x2                  // global write D address
s_waitcnt lgkmcnt(6)                               // wait for LDS read
_buffer_store_b128 v[20:23], v13, s[sgprSrdD:sgprSrdD+3], 0, offen, offset:0 // store D
_v_add_u32 v13, v6, 2                              // coord1 += nColPerLoad
	;; [unrolled: 5-line block ×7, first 2 shown]
v_mul_lo_u32 v13, v13, s[sgprStrideD1J]            // coord1 offset =  coord1 * StrideD
_v_add_lshl_u32 v13, v13, v4, 0x2                  // global write D address
s_waitcnt lgkmcnt(0)                               // wait for LDS read
_buffer_store_b128 v[52:55], v13, s[sgprSrdD:sgprSrdD+3], 0, offen, offset:0 // store D

s_barrier //wait all lds read finished
s_nop 0                                            // 1 wait state required when next inst writes vgprs held by previous dwordx4 store inst
/* optSingleColVgpr=1 optSharedColVgpr=0 optSGPRUsage=BufferLoad_Mask optSrdIncForRow=1 */

/******************************************/
/* Global Write Alpha Beta Batch #3 (d1,d0,vc1,vc0) = */
/*    (3,0,0,0:vw4); (3,1,0,0:vw4); (3,2,0,0:vw4); (3,3,0,0:vw4); (3,4,0,0:vw4); (3,5,0,0:vw4); (3,6,0,0:vw4); (3,7,0,0:vw4) */
/******************************************/

/* calc coords, apply mask, and issue loads (if necessary) */
/* (d1,vc1,d0,vc0)=(3,0,0,0) */
s_mul_i32 s32, s[sgprStrideC1J], 128               // scale StrideC *= numRows(32) * bpe
s_add_u32  s[sgprSrdC+0], s[sgprSrdC+0], s32       // incToNextRow: gra SRD += inc(lower)
s_addc_u32  s[sgprSrdC+1], s[sgprSrdC+1], 0        // incToNextRow: gra SRD += inc(upper)
_buffer_load_b128 v[16:19], v12, s[sgprSrdC:sgprSrdC+3], 0, offen offset:0 // load C for beta calc
/* (d1,vc1,d0,vc0)=(3,0,1,0) */
_buffer_load_b128 v[24:27], v12, s[sgprSrdC:sgprSrdC+3], 0, offen offset:32 // load C for beta calc
/* (d1,vc1,d0,vc0)=(3,0,2,0) */
_buffer_load_b128 v[32:35], v12, s[sgprSrdC:sgprSrdC+3], 0, offen offset:64 // load C for beta calc
/* (d1,vc1,d0,vc0)=(3,0,3,0) */
_buffer_load_b128 v[40:43], v12, s[sgprSrdC:sgprSrdC+3], 0, offen offset:96 // load C for beta calc
/* (d1,vc1,d0,vc0)=(3,0,4,0) */
_buffer_load_b128 v[56:59], v12, s[sgprSrdC:sgprSrdC+3], 0, offen offset:512 // load C for beta calc
/* (d1,vc1,d0,vc0)=(3,0,5,0) */
_buffer_load_b128 v[64:67], v12, s[sgprSrdC:sgprSrdC+3], 0, offen offset:544 // load C for beta calc
/* (d1,vc1,d0,vc0)=(3,0,6,0) */
_buffer_load_b128 v[72:75], v12, s[sgprSrdC:sgprSrdC+3], 0, offen offset:576 // load C for beta calc
/* (d1,vc1,d0,vc0)=(3,0,7,0) */
_buffer_load_b128 v[80:83], v12, s[sgprSrdC:sgprSrdC+3], 0, offen offset:608 // load C for beta calc
v_accvgpr_read_b32 v[vgprValuC+20], acc96 // copy acc to vreg[96]
v_accvgpr_read_b32 v[vgprValuC+21], acc97 // copy acc to vreg[97]
v_accvgpr_read_b32 v[vgprValuC+22], acc98 // copy acc to vreg[98]
v_accvgpr_read_b32 v[vgprValuC+23], acc99 // copy acc to vreg[99]
v_accvgpr_read_b32 v[vgprValuC+28], acc100 // copy acc to vreg[100]
v_accvgpr_read_b32 v[vgprValuC+29], acc101 // copy acc to vreg[101]
v_accvgpr_read_b32 v[vgprValuC+30], acc102 // copy acc to vreg[102]
v_accvgpr_read_b32 v[vgprValuC+31], acc103 // copy acc to vreg[103]
v_accvgpr_read_b32 v[vgprValuC+36], acc104 // copy acc to vreg[104]
v_accvgpr_read_b32 v[vgprValuC+37], acc105 // copy acc to vreg[105]
v_accvgpr_read_b32 v[vgprValuC+38], acc106 // copy acc to vreg[106]
v_accvgpr_read_b32 v[vgprValuC+39], acc107 // copy acc to vreg[107]
v_accvgpr_read_b32 v[vgprValuC+52], acc108 // copy acc to vreg[108]
v_accvgpr_read_b32 v[vgprValuC+53], acc109 // copy acc to vreg[109]
v_accvgpr_read_b32 v[vgprValuC+54], acc110 // copy acc to vreg[110]
v_accvgpr_read_b32 v[vgprValuC+55], acc111 // copy acc to vreg[111]
v_accvgpr_read_b32 v[vgprValuC+60], acc112 // copy acc to vreg[112]
v_accvgpr_read_b32 v[vgprValuC+61], acc113 // copy acc to vreg[113]
v_accvgpr_read_b32 v[vgprValuC+62], acc114 // copy acc to vreg[114]
v_accvgpr_read_b32 v[vgprValuC+63], acc115 // copy acc to vreg[115]
v_accvgpr_read_b32 v[vgprValuC+68], acc116 // copy acc to vreg[116]
v_accvgpr_read_b32 v[vgprValuC+69], acc117 // copy acc to vreg[117]
v_accvgpr_read_b32 v[vgprValuC+70], acc118 // copy acc to vreg[118]
v_accvgpr_read_b32 v[vgprValuC+71], acc119 // copy acc to vreg[119]
v_accvgpr_read_b32 v[vgprValuC+76], acc120 // copy acc to vreg[120]
v_accvgpr_read_b32 v[vgprValuC+77], acc121 // copy acc to vreg[121]
v_accvgpr_read_b32 v[vgprValuC+78], acc122 // copy acc to vreg[122]
v_accvgpr_read_b32 v[vgprValuC+79], acc123 // copy acc to vreg[123]
v_accvgpr_read_b32 v[vgprValuC+84], acc124 // copy acc to vreg[124]
v_accvgpr_read_b32 v[vgprValuC+85], acc125 // copy acc to vreg[125]
v_accvgpr_read_b32 v[vgprValuC+86], acc126 // copy acc to vreg[126]
v_accvgpr_read_b32 v[vgprValuC+87], acc127 // copy acc to vreg[127]
s_nop 1                                            // 2 wait states required before reading vgpr

/* rC *= alpha batchElements=[(3, 0, 0, 0), (3, 1, 0, 0), (3, 2, 0, 0), (3, 3, 0, 0), (3, 4, 0, 0), (3, 5, 0, 0), (3, 6, 0, 0), (3, 7, 0, 0)] */
v_mul_lo_u32 v[vgprValuC+20], s[sgprAlpha], v[vgprValuC+20] // *= alpha
v_mul_lo_u32 v[vgprValuC+21], s[sgprAlpha], v[vgprValuC+21] // *= alpha
	;; [unrolled: 1-line block ×32, first 2 shown]

/* apply mask, calc new C and issue writes */

/* StoreRemap: shift coord1 address */
s_mul_i32 s32, s[sgprStrideD1J], 128               // scale StrideD *= numRows(32) * bpe
s_add_u32  s[sgprSrdD+0], s[sgprSrdD+0], s32       // incToNextRow: gra SRD += inc(lower)
s_addc_u32  s[sgprSrdD+1], s[sgprSrdD+1], 0        // incToNextRow: gra SRD += inc(upper)
v_mov_b32 v10, 32                                  // set shift rows
_v_add_u32 v5, v5, v10                             // shift storeRemap coord1

s_waitcnt vmcnt(7)                                 // wait C (interleaved) 7 = 8 - 0 + 0 - 1
v_mul_lo_u32 v16, s[sgprBeta], v16                 // C = C*beta
_v_add_u32 v[vgprValuC+20], v16, v[vgprValuC+20]   // finalSum = sum*alpha + C*beta
v_mul_lo_u32 v17, s[sgprBeta], v17                 // C = C*beta
_v_add_u32 v[vgprValuC+21], v17, v[vgprValuC+21]   // finalSum = sum*alpha + C*beta
	;; [unrolled: 2-line block ×4, first 2 shown]
_ds_store_b128 v7, v[20:23], offset:0              // storeRemap lw

s_waitcnt vmcnt(6)                                 // wait C (interleaved) 6 = 8 - 1 + 0 - 1
v_mul_lo_u32 v24, s[sgprBeta], v24                 // C = C*beta
_v_add_u32 v[vgprValuC+28], v24, v[vgprValuC+28]   // finalSum = sum*alpha + C*beta
v_mul_lo_u32 v25, s[sgprBeta], v25                 // C = C*beta
_v_add_u32 v[vgprValuC+29], v25, v[vgprValuC+29]   // finalSum = sum*alpha + C*beta
v_mul_lo_u32 v26, s[sgprBeta], v26                 // C = C*beta
_v_add_u32 v[vgprValuC+30], v26, v[vgprValuC+30]   // finalSum = sum*alpha + C*beta
v_mul_lo_u32 v27, s[sgprBeta], v27                 // C = C*beta
_v_add_u32 v[vgprValuC+31], v27, v[vgprValuC+31]   // finalSum = sum*alpha + C*beta
_ds_store_b128 v7, v[28:31], offset:32             // storeRemap lw

s_waitcnt vmcnt(5)                                 // wait C (interleaved) 5 = 8 - 2 + 0 - 1
v_mul_lo_u32 v32, s[sgprBeta], v32                 // C = C*beta
_v_add_u32 v[vgprValuC+36], v32, v[vgprValuC+36]   // finalSum = sum*alpha + C*beta
v_mul_lo_u32 v33, s[sgprBeta], v33                 // C = C*beta
_v_add_u32 v[vgprValuC+37], v33, v[vgprValuC+37]   // finalSum = sum*alpha + C*beta
v_mul_lo_u32 v34, s[sgprBeta], v34                 // C = C*beta
_v_add_u32 v[vgprValuC+38], v34, v[vgprValuC+38]   // finalSum = sum*alpha + C*beta
v_mul_lo_u32 v35, s[sgprBeta], v35                 // C = C*beta
_v_add_u32 v[vgprValuC+39], v35, v[vgprValuC+39]   // finalSum = sum*alpha + C*beta
_ds_store_b128 v7, v[36:39], offset:64             // storeRemap lw
	;; [unrolled: 11-line block ×3, first 2 shown]

s_waitcnt vmcnt(3)                                 // wait C (interleaved) 3 = 8 - 4 + 0 - 1
v_mul_lo_u32 v56, s[sgprBeta], v56                 // C = C*beta
_v_add_u32 v[vgprValuC+60], v56, v[vgprValuC+60]   // finalSum = sum*alpha + C*beta
v_mul_lo_u32 v57, s[sgprBeta], v57                 // C = C*beta
_v_add_u32 v[vgprValuC+61], v57, v[vgprValuC+61]   // finalSum = sum*alpha + C*beta
v_mul_lo_u32 v58, s[sgprBeta], v58                 // C = C*beta
_v_add_u32 v[vgprValuC+62], v58, v[vgprValuC+62]   // finalSum = sum*alpha + C*beta
v_mul_lo_u32 v59, s[sgprBeta], v59                 // C = C*beta
_v_add_u32 v[vgprValuC+63], v59, v[vgprValuC+63]   // finalSum = sum*alpha + C*beta
_ds_store_b128 v7, v[60:63], offset:512            // storeRemap lw

s_waitcnt vmcnt(2)                                 // wait C (interleaved) 2 = 8 - 5 + 0 - 1
v_mul_lo_u32 v64, s[sgprBeta], v64                 // C = C*beta
_v_add_u32 v[vgprValuC+68], v64, v[vgprValuC+68]   // finalSum = sum*alpha + C*beta
v_mul_lo_u32 v65, s[sgprBeta], v65                 // C = C*beta
_v_add_u32 v[vgprValuC+69], v65, v[vgprValuC+69]   // finalSum = sum*alpha + C*beta
v_mul_lo_u32 v66, s[sgprBeta], v66                 // C = C*beta
_v_add_u32 v[vgprValuC+70], v66, v[vgprValuC+70]   // finalSum = sum*alpha + C*beta
v_mul_lo_u32 v67, s[sgprBeta], v67                 // C = C*beta
_v_add_u32 v[vgprValuC+71], v67, v[vgprValuC+71]   // finalSum = sum*alpha + C*beta
_ds_store_b128 v7, v[68:71], offset:544            // storeRemap lw
	;; [unrolled: 11-line block ×4, first 2 shown]

/* Handle local read and global write */
s_waitcnt lgkmcnt(0)                               // wait for LDS write
s_barrier //wait all lds write finished

_ds_load_b128 v[16:19], v8, offset:0               // storeRemap lr
_ds_load_b128 v[20:23], v8, offset:1040            // storeRemap lr
_ds_load_b128 v[24:27], v8, offset:2080            // storeRemap lr
	;; [unrolled: 1-line block ×7, first 2 shown]

v_mov_b32 v13, v6                                  // coord1
v_mul_lo_u32 v13, v13, s[sgprStrideD1J]            // coord1 offset =  coord1 * StrideD
_v_add_lshl_u32 v13, v13, v4, 0x2                  // global write D address
s_waitcnt lgkmcnt(7)                               // wait for LDS read
_buffer_store_b128 v[16:19], v13, s[sgprSrdD:sgprSrdD+3], 0, offen, offset:0 // store D
_v_add_u32 v13, v6, 1                              // coord1 += nColPerLoad
v_mul_lo_u32 v13, v13, s[sgprStrideD1J]            // coord1 offset =  coord1 * StrideD
_v_add_lshl_u32 v13, v13, v4, 0x2                  // global write D address
s_waitcnt lgkmcnt(6)                               // wait for LDS read
_buffer_store_b128 v[20:23], v13, s[sgprSrdD:sgprSrdD+3], 0, offen, offset:0 // store D
_v_add_u32 v13, v6, 2                              // coord1 += nColPerLoad
	;; [unrolled: 5-line block ×7, first 2 shown]
v_mul_lo_u32 v13, v13, s[sgprStrideD1J]            // coord1 offset =  coord1 * StrideD
_v_add_lshl_u32 v13, v13, v4, 0x2                  // global write D address
s_waitcnt lgkmcnt(0)                               // wait for LDS read
_buffer_store_b128 v[52:55], v13, s[sgprSrdD:sgprSrdD+3], 0, offen, offset:0 // store D

s_barrier //wait all lds read finished
s_nop 0                                            // 1 wait state required when next inst writes vgprs held by previous dwordx4 store inst
/* optSingleColVgpr=1 optSharedColVgpr=0 optSGPRUsage=BufferLoad_Mask optSrdIncForRow=1 */

/******************************************/
/* Global Write Alpha Beta Batch #4 (d1,d0,vc1,vc0) = */
/*    (4,0,0,0:vw4); (4,1,0,0:vw4); (4,2,0,0:vw4); (4,3,0,0:vw4); (4,4,0,0:vw4); (4,5,0,0:vw4); (4,6,0,0:vw4); (4,7,0,0:vw4) */
/******************************************/

/* calc coords, apply mask, and issue loads (if necessary) */
/* (d1,vc1,d0,vc0)=(4,0,0,0) */
s_mul_i32 s32, s[sgprStrideC1J], 128               // scale StrideC *= numRows(32) * bpe
s_add_u32  s[sgprSrdC+0], s[sgprSrdC+0], s32       // incToNextRow: gra SRD += inc(lower)
s_addc_u32  s[sgprSrdC+1], s[sgprSrdC+1], 0        // incToNextRow: gra SRD += inc(upper)
_buffer_load_b128 v[16:19], v12, s[sgprSrdC:sgprSrdC+3], 0, offen offset:0 // load C for beta calc
/* (d1,vc1,d0,vc0)=(4,0,1,0) */
_buffer_load_b128 v[24:27], v12, s[sgprSrdC:sgprSrdC+3], 0, offen offset:32 // load C for beta calc
/* (d1,vc1,d0,vc0)=(4,0,2,0) */
	;; [unrolled: 2-line block ×7, first 2 shown]
_buffer_load_b128 v[80:83], v12, s[sgprSrdC:sgprSrdC+3], 0, offen offset:608 // load C for beta calc
v_accvgpr_read_b32 v[vgprValuC+20], acc128 // copy acc to vreg[128]
v_accvgpr_read_b32 v[vgprValuC+21], acc129 // copy acc to vreg[129]
v_accvgpr_read_b32 v[vgprValuC+22], acc130 // copy acc to vreg[130]
v_accvgpr_read_b32 v[vgprValuC+23], acc131 // copy acc to vreg[131]
v_accvgpr_read_b32 v[vgprValuC+28], acc132 // copy acc to vreg[132]
v_accvgpr_read_b32 v[vgprValuC+29], acc133 // copy acc to vreg[133]
v_accvgpr_read_b32 v[vgprValuC+30], acc134 // copy acc to vreg[134]
v_accvgpr_read_b32 v[vgprValuC+31], acc135 // copy acc to vreg[135]
v_accvgpr_read_b32 v[vgprValuC+36], acc136 // copy acc to vreg[136]
v_accvgpr_read_b32 v[vgprValuC+37], acc137 // copy acc to vreg[137]
v_accvgpr_read_b32 v[vgprValuC+38], acc138 // copy acc to vreg[138]
v_accvgpr_read_b32 v[vgprValuC+39], acc139 // copy acc to vreg[139]
v_accvgpr_read_b32 v[vgprValuC+52], acc140 // copy acc to vreg[140]
v_accvgpr_read_b32 v[vgprValuC+53], acc141 // copy acc to vreg[141]
v_accvgpr_read_b32 v[vgprValuC+54], acc142 // copy acc to vreg[142]
v_accvgpr_read_b32 v[vgprValuC+55], acc143 // copy acc to vreg[143]
v_accvgpr_read_b32 v[vgprValuC+60], acc144 // copy acc to vreg[144]
v_accvgpr_read_b32 v[vgprValuC+61], acc145 // copy acc to vreg[145]
v_accvgpr_read_b32 v[vgprValuC+62], acc146 // copy acc to vreg[146]
v_accvgpr_read_b32 v[vgprValuC+63], acc147 // copy acc to vreg[147]
v_accvgpr_read_b32 v[vgprValuC+68], acc148 // copy acc to vreg[148]
v_accvgpr_read_b32 v[vgprValuC+69], acc149 // copy acc to vreg[149]
v_accvgpr_read_b32 v[vgprValuC+70], acc150 // copy acc to vreg[150]
v_accvgpr_read_b32 v[vgprValuC+71], acc151 // copy acc to vreg[151]
v_accvgpr_read_b32 v[vgprValuC+76], acc152 // copy acc to vreg[152]
v_accvgpr_read_b32 v[vgprValuC+77], acc153 // copy acc to vreg[153]
v_accvgpr_read_b32 v[vgprValuC+78], acc154 // copy acc to vreg[154]
v_accvgpr_read_b32 v[vgprValuC+79], acc155 // copy acc to vreg[155]
v_accvgpr_read_b32 v[vgprValuC+84], acc156 // copy acc to vreg[156]
v_accvgpr_read_b32 v[vgprValuC+85], acc157 // copy acc to vreg[157]
v_accvgpr_read_b32 v[vgprValuC+86], acc158 // copy acc to vreg[158]
v_accvgpr_read_b32 v[vgprValuC+87], acc159 // copy acc to vreg[159]
s_nop 1                                            // 2 wait states required before reading vgpr

/* rC *= alpha batchElements=[(4, 0, 0, 0), (4, 1, 0, 0), (4, 2, 0, 0), (4, 3, 0, 0), (4, 4, 0, 0), (4, 5, 0, 0), (4, 6, 0, 0), (4, 7, 0, 0)] */
v_mul_lo_u32 v[vgprValuC+20], s[sgprAlpha], v[vgprValuC+20] // *= alpha
v_mul_lo_u32 v[vgprValuC+21], s[sgprAlpha], v[vgprValuC+21] // *= alpha
	;; [unrolled: 1-line block ×32, first 2 shown]

/* apply mask, calc new C and issue writes */

/* StoreRemap: shift coord1 address */
s_mul_i32 s32, s[sgprStrideD1J], 128               // scale StrideD *= numRows(32) * bpe
s_add_u32  s[sgprSrdD+0], s[sgprSrdD+0], s32       // incToNextRow: gra SRD += inc(lower)
s_addc_u32  s[sgprSrdD+1], s[sgprSrdD+1], 0        // incToNextRow: gra SRD += inc(upper)
v_mov_b32 v10, 32                                  // set shift rows
_v_add_u32 v5, v5, v10                             // shift storeRemap coord1

s_waitcnt vmcnt(7)                                 // wait C (interleaved) 7 = 8 - 0 + 0 - 1
v_mul_lo_u32 v16, s[sgprBeta], v16                 // C = C*beta
_v_add_u32 v[vgprValuC+20], v16, v[vgprValuC+20]   // finalSum = sum*alpha + C*beta
v_mul_lo_u32 v17, s[sgprBeta], v17                 // C = C*beta
_v_add_u32 v[vgprValuC+21], v17, v[vgprValuC+21]   // finalSum = sum*alpha + C*beta
	;; [unrolled: 2-line block ×4, first 2 shown]
_ds_store_b128 v7, v[20:23], offset:0              // storeRemap lw

s_waitcnt vmcnt(6)                                 // wait C (interleaved) 6 = 8 - 1 + 0 - 1
v_mul_lo_u32 v24, s[sgprBeta], v24                 // C = C*beta
_v_add_u32 v[vgprValuC+28], v24, v[vgprValuC+28]   // finalSum = sum*alpha + C*beta
v_mul_lo_u32 v25, s[sgprBeta], v25                 // C = C*beta
_v_add_u32 v[vgprValuC+29], v25, v[vgprValuC+29]   // finalSum = sum*alpha + C*beta
v_mul_lo_u32 v26, s[sgprBeta], v26                 // C = C*beta
_v_add_u32 v[vgprValuC+30], v26, v[vgprValuC+30]   // finalSum = sum*alpha + C*beta
v_mul_lo_u32 v27, s[sgprBeta], v27                 // C = C*beta
_v_add_u32 v[vgprValuC+31], v27, v[vgprValuC+31]   // finalSum = sum*alpha + C*beta
_ds_store_b128 v7, v[28:31], offset:32             // storeRemap lw

s_waitcnt vmcnt(5)                                 // wait C (interleaved) 5 = 8 - 2 + 0 - 1
v_mul_lo_u32 v32, s[sgprBeta], v32                 // C = C*beta
_v_add_u32 v[vgprValuC+36], v32, v[vgprValuC+36]   // finalSum = sum*alpha + C*beta
v_mul_lo_u32 v33, s[sgprBeta], v33                 // C = C*beta
_v_add_u32 v[vgprValuC+37], v33, v[vgprValuC+37]   // finalSum = sum*alpha + C*beta
v_mul_lo_u32 v34, s[sgprBeta], v34                 // C = C*beta
_v_add_u32 v[vgprValuC+38], v34, v[vgprValuC+38]   // finalSum = sum*alpha + C*beta
v_mul_lo_u32 v35, s[sgprBeta], v35                 // C = C*beta
_v_add_u32 v[vgprValuC+39], v35, v[vgprValuC+39]   // finalSum = sum*alpha + C*beta
_ds_store_b128 v7, v[36:39], offset:64             // storeRemap lw
	;; [unrolled: 11-line block ×3, first 2 shown]

s_waitcnt vmcnt(3)                                 // wait C (interleaved) 3 = 8 - 4 + 0 - 1
v_mul_lo_u32 v56, s[sgprBeta], v56                 // C = C*beta
_v_add_u32 v[vgprValuC+60], v56, v[vgprValuC+60]   // finalSum = sum*alpha + C*beta
v_mul_lo_u32 v57, s[sgprBeta], v57                 // C = C*beta
_v_add_u32 v[vgprValuC+61], v57, v[vgprValuC+61]   // finalSum = sum*alpha + C*beta
v_mul_lo_u32 v58, s[sgprBeta], v58                 // C = C*beta
_v_add_u32 v[vgprValuC+62], v58, v[vgprValuC+62]   // finalSum = sum*alpha + C*beta
v_mul_lo_u32 v59, s[sgprBeta], v59                 // C = C*beta
_v_add_u32 v[vgprValuC+63], v59, v[vgprValuC+63]   // finalSum = sum*alpha + C*beta
_ds_store_b128 v7, v[60:63], offset:512            // storeRemap lw

s_waitcnt vmcnt(2)                                 // wait C (interleaved) 2 = 8 - 5 + 0 - 1
v_mul_lo_u32 v64, s[sgprBeta], v64                 // C = C*beta
_v_add_u32 v[vgprValuC+68], v64, v[vgprValuC+68]   // finalSum = sum*alpha + C*beta
v_mul_lo_u32 v65, s[sgprBeta], v65                 // C = C*beta
_v_add_u32 v[vgprValuC+69], v65, v[vgprValuC+69]   // finalSum = sum*alpha + C*beta
v_mul_lo_u32 v66, s[sgprBeta], v66                 // C = C*beta
_v_add_u32 v[vgprValuC+70], v66, v[vgprValuC+70]   // finalSum = sum*alpha + C*beta
v_mul_lo_u32 v67, s[sgprBeta], v67                 // C = C*beta
_v_add_u32 v[vgprValuC+71], v67, v[vgprValuC+71]   // finalSum = sum*alpha + C*beta
_ds_store_b128 v7, v[68:71], offset:544            // storeRemap lw
	;; [unrolled: 11-line block ×4, first 2 shown]

/* Handle local read and global write */
s_waitcnt lgkmcnt(0)                               // wait for LDS write
s_barrier //wait all lds write finished

_ds_load_b128 v[16:19], v8, offset:0               // storeRemap lr
_ds_load_b128 v[20:23], v8, offset:1040            // storeRemap lr
_ds_load_b128 v[24:27], v8, offset:2080            // storeRemap lr
	;; [unrolled: 1-line block ×7, first 2 shown]

v_mov_b32 v13, v6                                  // coord1
v_mul_lo_u32 v13, v13, s[sgprStrideD1J]            // coord1 offset =  coord1 * StrideD
_v_add_lshl_u32 v13, v13, v4, 0x2                  // global write D address
s_waitcnt lgkmcnt(7)                               // wait for LDS read
_buffer_store_b128 v[16:19], v13, s[sgprSrdD:sgprSrdD+3], 0, offen, offset:0 // store D
_v_add_u32 v13, v6, 1                              // coord1 += nColPerLoad
v_mul_lo_u32 v13, v13, s[sgprStrideD1J]            // coord1 offset =  coord1 * StrideD
_v_add_lshl_u32 v13, v13, v4, 0x2                  // global write D address
s_waitcnt lgkmcnt(6)                               // wait for LDS read
_buffer_store_b128 v[20:23], v13, s[sgprSrdD:sgprSrdD+3], 0, offen, offset:0 // store D
_v_add_u32 v13, v6, 2                              // coord1 += nColPerLoad
	;; [unrolled: 5-line block ×7, first 2 shown]
v_mul_lo_u32 v13, v13, s[sgprStrideD1J]            // coord1 offset =  coord1 * StrideD
_v_add_lshl_u32 v13, v13, v4, 0x2                  // global write D address
s_waitcnt lgkmcnt(0)                               // wait for LDS read
_buffer_store_b128 v[52:55], v13, s[sgprSrdD:sgprSrdD+3], 0, offen, offset:0 // store D

s_barrier //wait all lds read finished
s_nop 0                                            // 1 wait state required when next inst writes vgprs held by previous dwordx4 store inst
/* optSingleColVgpr=1 optSharedColVgpr=0 optSGPRUsage=BufferLoad_Mask optSrdIncForRow=1 */

/******************************************/
/* Global Write Alpha Beta Batch #5 (d1,d0,vc1,vc0) = */
/*    (5,0,0,0:vw4); (5,1,0,0:vw4); (5,2,0,0:vw4); (5,3,0,0:vw4); (5,4,0,0:vw4); (5,5,0,0:vw4); (5,6,0,0:vw4); (5,7,0,0:vw4) */
/******************************************/

/* calc coords, apply mask, and issue loads (if necessary) */
/* (d1,vc1,d0,vc0)=(5,0,0,0) */
s_mul_i32 s32, s[sgprStrideC1J], 128               // scale StrideC *= numRows(32) * bpe
s_add_u32  s[sgprSrdC+0], s[sgprSrdC+0], s32       // incToNextRow: gra SRD += inc(lower)
s_addc_u32  s[sgprSrdC+1], s[sgprSrdC+1], 0        // incToNextRow: gra SRD += inc(upper)
_buffer_load_b128 v[16:19], v12, s[sgprSrdC:sgprSrdC+3], 0, offen offset:0 // load C for beta calc
/* (d1,vc1,d0,vc0)=(5,0,1,0) */
_buffer_load_b128 v[24:27], v12, s[sgprSrdC:sgprSrdC+3], 0, offen offset:32 // load C for beta calc
/* (d1,vc1,d0,vc0)=(5,0,2,0) */
	;; [unrolled: 2-line block ×7, first 2 shown]
_buffer_load_b128 v[80:83], v12, s[sgprSrdC:sgprSrdC+3], 0, offen offset:608 // load C for beta calc
v_accvgpr_read_b32 v[vgprValuC+20], acc160 // copy acc to vreg[160]
v_accvgpr_read_b32 v[vgprValuC+21], acc161 // copy acc to vreg[161]
v_accvgpr_read_b32 v[vgprValuC+22], acc162 // copy acc to vreg[162]
v_accvgpr_read_b32 v[vgprValuC+23], acc163 // copy acc to vreg[163]
v_accvgpr_read_b32 v[vgprValuC+28], acc164 // copy acc to vreg[164]
v_accvgpr_read_b32 v[vgprValuC+29], acc165 // copy acc to vreg[165]
v_accvgpr_read_b32 v[vgprValuC+30], acc166 // copy acc to vreg[166]
v_accvgpr_read_b32 v[vgprValuC+31], acc167 // copy acc to vreg[167]
v_accvgpr_read_b32 v[vgprValuC+36], acc168 // copy acc to vreg[168]
v_accvgpr_read_b32 v[vgprValuC+37], acc169 // copy acc to vreg[169]
v_accvgpr_read_b32 v[vgprValuC+38], acc170 // copy acc to vreg[170]
v_accvgpr_read_b32 v[vgprValuC+39], acc171 // copy acc to vreg[171]
v_accvgpr_read_b32 v[vgprValuC+52], acc172 // copy acc to vreg[172]
v_accvgpr_read_b32 v[vgprValuC+53], acc173 // copy acc to vreg[173]
v_accvgpr_read_b32 v[vgprValuC+54], acc174 // copy acc to vreg[174]
v_accvgpr_read_b32 v[vgprValuC+55], acc175 // copy acc to vreg[175]
v_accvgpr_read_b32 v[vgprValuC+60], acc176 // copy acc to vreg[176]
v_accvgpr_read_b32 v[vgprValuC+61], acc177 // copy acc to vreg[177]
v_accvgpr_read_b32 v[vgprValuC+62], acc178 // copy acc to vreg[178]
v_accvgpr_read_b32 v[vgprValuC+63], acc179 // copy acc to vreg[179]
v_accvgpr_read_b32 v[vgprValuC+68], acc180 // copy acc to vreg[180]
v_accvgpr_read_b32 v[vgprValuC+69], acc181 // copy acc to vreg[181]
v_accvgpr_read_b32 v[vgprValuC+70], acc182 // copy acc to vreg[182]
v_accvgpr_read_b32 v[vgprValuC+71], acc183 // copy acc to vreg[183]
v_accvgpr_read_b32 v[vgprValuC+76], acc184 // copy acc to vreg[184]
v_accvgpr_read_b32 v[vgprValuC+77], acc185 // copy acc to vreg[185]
v_accvgpr_read_b32 v[vgprValuC+78], acc186 // copy acc to vreg[186]
v_accvgpr_read_b32 v[vgprValuC+79], acc187 // copy acc to vreg[187]
v_accvgpr_read_b32 v[vgprValuC+84], acc188 // copy acc to vreg[188]
v_accvgpr_read_b32 v[vgprValuC+85], acc189 // copy acc to vreg[189]
v_accvgpr_read_b32 v[vgprValuC+86], acc190 // copy acc to vreg[190]
v_accvgpr_read_b32 v[vgprValuC+87], acc191 // copy acc to vreg[191]
s_nop 1                                            // 2 wait states required before reading vgpr

/* rC *= alpha batchElements=[(5, 0, 0, 0), (5, 1, 0, 0), (5, 2, 0, 0), (5, 3, 0, 0), (5, 4, 0, 0), (5, 5, 0, 0), (5, 6, 0, 0), (5, 7, 0, 0)] */
v_mul_lo_u32 v[vgprValuC+20], s[sgprAlpha], v[vgprValuC+20] // *= alpha
v_mul_lo_u32 v[vgprValuC+21], s[sgprAlpha], v[vgprValuC+21] // *= alpha
	;; [unrolled: 1-line block ×32, first 2 shown]

/* apply mask, calc new C and issue writes */

/* StoreRemap: shift coord1 address */
s_mul_i32 s32, s[sgprStrideD1J], 128               // scale StrideD *= numRows(32) * bpe
s_add_u32  s[sgprSrdD+0], s[sgprSrdD+0], s32       // incToNextRow: gra SRD += inc(lower)
s_addc_u32  s[sgprSrdD+1], s[sgprSrdD+1], 0        // incToNextRow: gra SRD += inc(upper)
v_mov_b32 v10, 32                                  // set shift rows
_v_add_u32 v5, v5, v10                             // shift storeRemap coord1

s_waitcnt vmcnt(7)                                 // wait C (interleaved) 7 = 8 - 0 + 0 - 1
v_mul_lo_u32 v16, s[sgprBeta], v16                 // C = C*beta
_v_add_u32 v[vgprValuC+20], v16, v[vgprValuC+20]   // finalSum = sum*alpha + C*beta
v_mul_lo_u32 v17, s[sgprBeta], v17                 // C = C*beta
_v_add_u32 v[vgprValuC+21], v17, v[vgprValuC+21]   // finalSum = sum*alpha + C*beta
	;; [unrolled: 2-line block ×4, first 2 shown]
_ds_store_b128 v7, v[20:23], offset:0              // storeRemap lw

s_waitcnt vmcnt(6)                                 // wait C (interleaved) 6 = 8 - 1 + 0 - 1
v_mul_lo_u32 v24, s[sgprBeta], v24                 // C = C*beta
_v_add_u32 v[vgprValuC+28], v24, v[vgprValuC+28]   // finalSum = sum*alpha + C*beta
v_mul_lo_u32 v25, s[sgprBeta], v25                 // C = C*beta
_v_add_u32 v[vgprValuC+29], v25, v[vgprValuC+29]   // finalSum = sum*alpha + C*beta
v_mul_lo_u32 v26, s[sgprBeta], v26                 // C = C*beta
_v_add_u32 v[vgprValuC+30], v26, v[vgprValuC+30]   // finalSum = sum*alpha + C*beta
v_mul_lo_u32 v27, s[sgprBeta], v27                 // C = C*beta
_v_add_u32 v[vgprValuC+31], v27, v[vgprValuC+31]   // finalSum = sum*alpha + C*beta
_ds_store_b128 v7, v[28:31], offset:32             // storeRemap lw

s_waitcnt vmcnt(5)                                 // wait C (interleaved) 5 = 8 - 2 + 0 - 1
v_mul_lo_u32 v32, s[sgprBeta], v32                 // C = C*beta
_v_add_u32 v[vgprValuC+36], v32, v[vgprValuC+36]   // finalSum = sum*alpha + C*beta
v_mul_lo_u32 v33, s[sgprBeta], v33                 // C = C*beta
_v_add_u32 v[vgprValuC+37], v33, v[vgprValuC+37]   // finalSum = sum*alpha + C*beta
v_mul_lo_u32 v34, s[sgprBeta], v34                 // C = C*beta
_v_add_u32 v[vgprValuC+38], v34, v[vgprValuC+38]   // finalSum = sum*alpha + C*beta
v_mul_lo_u32 v35, s[sgprBeta], v35                 // C = C*beta
_v_add_u32 v[vgprValuC+39], v35, v[vgprValuC+39]   // finalSum = sum*alpha + C*beta
_ds_store_b128 v7, v[36:39], offset:64             // storeRemap lw
	;; [unrolled: 11-line block ×3, first 2 shown]

s_waitcnt vmcnt(3)                                 // wait C (interleaved) 3 = 8 - 4 + 0 - 1
v_mul_lo_u32 v56, s[sgprBeta], v56                 // C = C*beta
_v_add_u32 v[vgprValuC+60], v56, v[vgprValuC+60]   // finalSum = sum*alpha + C*beta
v_mul_lo_u32 v57, s[sgprBeta], v57                 // C = C*beta
_v_add_u32 v[vgprValuC+61], v57, v[vgprValuC+61]   // finalSum = sum*alpha + C*beta
v_mul_lo_u32 v58, s[sgprBeta], v58                 // C = C*beta
_v_add_u32 v[vgprValuC+62], v58, v[vgprValuC+62]   // finalSum = sum*alpha + C*beta
v_mul_lo_u32 v59, s[sgprBeta], v59                 // C = C*beta
_v_add_u32 v[vgprValuC+63], v59, v[vgprValuC+63]   // finalSum = sum*alpha + C*beta
_ds_store_b128 v7, v[60:63], offset:512            // storeRemap lw

s_waitcnt vmcnt(2)                                 // wait C (interleaved) 2 = 8 - 5 + 0 - 1
v_mul_lo_u32 v64, s[sgprBeta], v64                 // C = C*beta
_v_add_u32 v[vgprValuC+68], v64, v[vgprValuC+68]   // finalSum = sum*alpha + C*beta
v_mul_lo_u32 v65, s[sgprBeta], v65                 // C = C*beta
_v_add_u32 v[vgprValuC+69], v65, v[vgprValuC+69]   // finalSum = sum*alpha + C*beta
v_mul_lo_u32 v66, s[sgprBeta], v66                 // C = C*beta
_v_add_u32 v[vgprValuC+70], v66, v[vgprValuC+70]   // finalSum = sum*alpha + C*beta
v_mul_lo_u32 v67, s[sgprBeta], v67                 // C = C*beta
_v_add_u32 v[vgprValuC+71], v67, v[vgprValuC+71]   // finalSum = sum*alpha + C*beta
_ds_store_b128 v7, v[68:71], offset:544            // storeRemap lw

s_waitcnt vmcnt(1)                                 // wait C (interleaved) 1 = 8 - 6 + 0 - 1
v_mul_lo_u32 v72, s[sgprBeta], v72                 // C = C*beta
_v_add_u32 v[vgprValuC+76], v72, v[vgprValuC+76]   // finalSum = sum*alpha + C*beta
v_mul_lo_u32 v73, s[sgprBeta], v73                 // C = C*beta
_v_add_u32 v[vgprValuC+77], v73, v[vgprValuC+77]   // finalSum = sum*alpha + C*beta
v_mul_lo_u32 v74, s[sgprBeta], v74                 // C = C*beta
_v_add_u32 v[vgprValuC+78], v74, v[vgprValuC+78]   // finalSum = sum*alpha + C*beta
v_mul_lo_u32 v75, s[sgprBeta], v75                 // C = C*beta
_v_add_u32 v[vgprValuC+79], v75, v[vgprValuC+79]   // finalSum = sum*alpha + C*beta
_ds_store_b128 v7, v[76:79], offset:576            // storeRemap lw

s_waitcnt vmcnt(0)                                 // wait C (interleaved) 0 = 8 - 7 + 0 - 1
v_mul_lo_u32 v80, s[sgprBeta], v80                 // C = C*beta
_v_add_u32 v[vgprValuC+84], v80, v[vgprValuC+84]   // finalSum = sum*alpha + C*beta
v_mul_lo_u32 v81, s[sgprBeta], v81                 // C = C*beta
_v_add_u32 v[vgprValuC+85], v81, v[vgprValuC+85]   // finalSum = sum*alpha + C*beta
v_mul_lo_u32 v82, s[sgprBeta], v82                 // C = C*beta
_v_add_u32 v[vgprValuC+86], v82, v[vgprValuC+86]   // finalSum = sum*alpha + C*beta
v_mul_lo_u32 v83, s[sgprBeta], v83                 // C = C*beta
_v_add_u32 v[vgprValuC+87], v83, v[vgprValuC+87]   // finalSum = sum*alpha + C*beta
_ds_store_b128 v7, v[84:87], offset:608            // storeRemap lw

/* Handle local read and global write */
s_waitcnt lgkmcnt(0)                               // wait for LDS write
s_barrier //wait all lds write finished

_ds_load_b128 v[16:19], v8, offset:0               // storeRemap lr
_ds_load_b128 v[20:23], v8, offset:1040            // storeRemap lr
_ds_load_b128 v[24:27], v8, offset:2080            // storeRemap lr
	;; [unrolled: 1-line block ×7, first 2 shown]

v_mov_b32 v13, v6                                  // coord1
v_mul_lo_u32 v13, v13, s[sgprStrideD1J]            // coord1 offset =  coord1 * StrideD
_v_add_lshl_u32 v13, v13, v4, 0x2                  // global write D address
s_waitcnt lgkmcnt(7)                               // wait for LDS read
_buffer_store_b128 v[16:19], v13, s[sgprSrdD:sgprSrdD+3], 0, offen, offset:0 // store D
_v_add_u32 v13, v6, 1                              // coord1 += nColPerLoad
v_mul_lo_u32 v13, v13, s[sgprStrideD1J]            // coord1 offset =  coord1 * StrideD
_v_add_lshl_u32 v13, v13, v4, 0x2                  // global write D address
s_waitcnt lgkmcnt(6)                               // wait for LDS read
_buffer_store_b128 v[20:23], v13, s[sgprSrdD:sgprSrdD+3], 0, offen, offset:0 // store D
_v_add_u32 v13, v6, 2                              // coord1 += nColPerLoad
	;; [unrolled: 5-line block ×7, first 2 shown]
v_mul_lo_u32 v13, v13, s[sgprStrideD1J]            // coord1 offset =  coord1 * StrideD
_v_add_lshl_u32 v13, v13, v4, 0x2                  // global write D address
s_waitcnt lgkmcnt(0)                               // wait for LDS read
_buffer_store_b128 v[52:55], v13, s[sgprSrdD:sgprSrdD+3], 0, offen, offset:0 // store D

s_barrier //wait all lds read finished
s_nop 0                                            // 1 wait state required when next inst writes vgprs held by previous dwordx4 store inst
/* optSingleColVgpr=1 optSharedColVgpr=0 optSGPRUsage=BufferLoad_Mask optSrdIncForRow=1 */

/******************************************/
/* Global Write Alpha Beta Batch #6 (d1,d0,vc1,vc0) = */
/*    (6,0,0,0:vw4); (6,1,0,0:vw4); (6,2,0,0:vw4); (6,3,0,0:vw4); (6,4,0,0:vw4); (6,5,0,0:vw4); (6,6,0,0:vw4); (6,7,0,0:vw4) */
/******************************************/

/* calc coords, apply mask, and issue loads (if necessary) */
/* (d1,vc1,d0,vc0)=(6,0,0,0) */
s_mul_i32 s32, s[sgprStrideC1J], 128               // scale StrideC *= numRows(32) * bpe
s_add_u32  s[sgprSrdC+0], s[sgprSrdC+0], s32       // incToNextRow: gra SRD += inc(lower)
s_addc_u32  s[sgprSrdC+1], s[sgprSrdC+1], 0        // incToNextRow: gra SRD += inc(upper)
_buffer_load_b128 v[16:19], v12, s[sgprSrdC:sgprSrdC+3], 0, offen offset:0 // load C for beta calc
/* (d1,vc1,d0,vc0)=(6,0,1,0) */
_buffer_load_b128 v[24:27], v12, s[sgprSrdC:sgprSrdC+3], 0, offen offset:32 // load C for beta calc
/* (d1,vc1,d0,vc0)=(6,0,2,0) */
	;; [unrolled: 2-line block ×7, first 2 shown]
_buffer_load_b128 v[80:83], v12, s[sgprSrdC:sgprSrdC+3], 0, offen offset:608 // load C for beta calc
v_accvgpr_read_b32 v[vgprValuC+20], acc192 // copy acc to vreg[192]
v_accvgpr_read_b32 v[vgprValuC+21], acc193 // copy acc to vreg[193]
v_accvgpr_read_b32 v[vgprValuC+22], acc194 // copy acc to vreg[194]
v_accvgpr_read_b32 v[vgprValuC+23], acc195 // copy acc to vreg[195]
v_accvgpr_read_b32 v[vgprValuC+28], acc196 // copy acc to vreg[196]
v_accvgpr_read_b32 v[vgprValuC+29], acc197 // copy acc to vreg[197]
v_accvgpr_read_b32 v[vgprValuC+30], acc198 // copy acc to vreg[198]
v_accvgpr_read_b32 v[vgprValuC+31], acc199 // copy acc to vreg[199]
v_accvgpr_read_b32 v[vgprValuC+36], acc200 // copy acc to vreg[200]
v_accvgpr_read_b32 v[vgprValuC+37], acc201 // copy acc to vreg[201]
v_accvgpr_read_b32 v[vgprValuC+38], acc202 // copy acc to vreg[202]
v_accvgpr_read_b32 v[vgprValuC+39], acc203 // copy acc to vreg[203]
v_accvgpr_read_b32 v[vgprValuC+52], acc204 // copy acc to vreg[204]
v_accvgpr_read_b32 v[vgprValuC+53], acc205 // copy acc to vreg[205]
v_accvgpr_read_b32 v[vgprValuC+54], acc206 // copy acc to vreg[206]
v_accvgpr_read_b32 v[vgprValuC+55], acc207 // copy acc to vreg[207]
v_accvgpr_read_b32 v[vgprValuC+60], acc208 // copy acc to vreg[208]
v_accvgpr_read_b32 v[vgprValuC+61], acc209 // copy acc to vreg[209]
v_accvgpr_read_b32 v[vgprValuC+62], acc210 // copy acc to vreg[210]
v_accvgpr_read_b32 v[vgprValuC+63], acc211 // copy acc to vreg[211]
v_accvgpr_read_b32 v[vgprValuC+68], acc212 // copy acc to vreg[212]
v_accvgpr_read_b32 v[vgprValuC+69], acc213 // copy acc to vreg[213]
v_accvgpr_read_b32 v[vgprValuC+70], acc214 // copy acc to vreg[214]
v_accvgpr_read_b32 v[vgprValuC+71], acc215 // copy acc to vreg[215]
v_accvgpr_read_b32 v[vgprValuC+76], acc216 // copy acc to vreg[216]
v_accvgpr_read_b32 v[vgprValuC+77], acc217 // copy acc to vreg[217]
v_accvgpr_read_b32 v[vgprValuC+78], acc218 // copy acc to vreg[218]
v_accvgpr_read_b32 v[vgprValuC+79], acc219 // copy acc to vreg[219]
v_accvgpr_read_b32 v[vgprValuC+84], acc220 // copy acc to vreg[220]
v_accvgpr_read_b32 v[vgprValuC+85], acc221 // copy acc to vreg[221]
v_accvgpr_read_b32 v[vgprValuC+86], acc222 // copy acc to vreg[222]
v_accvgpr_read_b32 v[vgprValuC+87], acc223 // copy acc to vreg[223]
s_nop 1                                            // 2 wait states required before reading vgpr

/* rC *= alpha batchElements=[(6, 0, 0, 0), (6, 1, 0, 0), (6, 2, 0, 0), (6, 3, 0, 0), (6, 4, 0, 0), (6, 5, 0, 0), (6, 6, 0, 0), (6, 7, 0, 0)] */
v_mul_lo_u32 v[vgprValuC+20], s[sgprAlpha], v[vgprValuC+20] // *= alpha
v_mul_lo_u32 v[vgprValuC+21], s[sgprAlpha], v[vgprValuC+21] // *= alpha
	;; [unrolled: 1-line block ×32, first 2 shown]

/* apply mask, calc new C and issue writes */

/* StoreRemap: shift coord1 address */
s_mul_i32 s32, s[sgprStrideD1J], 128               // scale StrideD *= numRows(32) * bpe
s_add_u32  s[sgprSrdD+0], s[sgprSrdD+0], s32       // incToNextRow: gra SRD += inc(lower)
s_addc_u32  s[sgprSrdD+1], s[sgprSrdD+1], 0        // incToNextRow: gra SRD += inc(upper)
v_mov_b32 v10, 32                                  // set shift rows
_v_add_u32 v5, v5, v10                             // shift storeRemap coord1

s_waitcnt vmcnt(7)                                 // wait C (interleaved) 7 = 8 - 0 + 0 - 1
v_mul_lo_u32 v16, s[sgprBeta], v16                 // C = C*beta
_v_add_u32 v[vgprValuC+20], v16, v[vgprValuC+20]   // finalSum = sum*alpha + C*beta
v_mul_lo_u32 v17, s[sgprBeta], v17                 // C = C*beta
_v_add_u32 v[vgprValuC+21], v17, v[vgprValuC+21]   // finalSum = sum*alpha + C*beta
	;; [unrolled: 2-line block ×4, first 2 shown]
_ds_store_b128 v7, v[20:23], offset:0              // storeRemap lw

s_waitcnt vmcnt(6)                                 // wait C (interleaved) 6 = 8 - 1 + 0 - 1
v_mul_lo_u32 v24, s[sgprBeta], v24                 // C = C*beta
_v_add_u32 v[vgprValuC+28], v24, v[vgprValuC+28]   // finalSum = sum*alpha + C*beta
v_mul_lo_u32 v25, s[sgprBeta], v25                 // C = C*beta
_v_add_u32 v[vgprValuC+29], v25, v[vgprValuC+29]   // finalSum = sum*alpha + C*beta
v_mul_lo_u32 v26, s[sgprBeta], v26                 // C = C*beta
_v_add_u32 v[vgprValuC+30], v26, v[vgprValuC+30]   // finalSum = sum*alpha + C*beta
v_mul_lo_u32 v27, s[sgprBeta], v27                 // C = C*beta
_v_add_u32 v[vgprValuC+31], v27, v[vgprValuC+31]   // finalSum = sum*alpha + C*beta
_ds_store_b128 v7, v[28:31], offset:32             // storeRemap lw

s_waitcnt vmcnt(5)                                 // wait C (interleaved) 5 = 8 - 2 + 0 - 1
v_mul_lo_u32 v32, s[sgprBeta], v32                 // C = C*beta
_v_add_u32 v[vgprValuC+36], v32, v[vgprValuC+36]   // finalSum = sum*alpha + C*beta
v_mul_lo_u32 v33, s[sgprBeta], v33                 // C = C*beta
_v_add_u32 v[vgprValuC+37], v33, v[vgprValuC+37]   // finalSum = sum*alpha + C*beta
v_mul_lo_u32 v34, s[sgprBeta], v34                 // C = C*beta
_v_add_u32 v[vgprValuC+38], v34, v[vgprValuC+38]   // finalSum = sum*alpha + C*beta
v_mul_lo_u32 v35, s[sgprBeta], v35                 // C = C*beta
_v_add_u32 v[vgprValuC+39], v35, v[vgprValuC+39]   // finalSum = sum*alpha + C*beta
_ds_store_b128 v7, v[36:39], offset:64             // storeRemap lw
	;; [unrolled: 11-line block ×3, first 2 shown]

s_waitcnt vmcnt(3)                                 // wait C (interleaved) 3 = 8 - 4 + 0 - 1
v_mul_lo_u32 v56, s[sgprBeta], v56                 // C = C*beta
_v_add_u32 v[vgprValuC+60], v56, v[vgprValuC+60]   // finalSum = sum*alpha + C*beta
v_mul_lo_u32 v57, s[sgprBeta], v57                 // C = C*beta
_v_add_u32 v[vgprValuC+61], v57, v[vgprValuC+61]   // finalSum = sum*alpha + C*beta
v_mul_lo_u32 v58, s[sgprBeta], v58                 // C = C*beta
_v_add_u32 v[vgprValuC+62], v58, v[vgprValuC+62]   // finalSum = sum*alpha + C*beta
v_mul_lo_u32 v59, s[sgprBeta], v59                 // C = C*beta
_v_add_u32 v[vgprValuC+63], v59, v[vgprValuC+63]   // finalSum = sum*alpha + C*beta
_ds_store_b128 v7, v[60:63], offset:512            // storeRemap lw

s_waitcnt vmcnt(2)                                 // wait C (interleaved) 2 = 8 - 5 + 0 - 1
v_mul_lo_u32 v64, s[sgprBeta], v64                 // C = C*beta
_v_add_u32 v[vgprValuC+68], v64, v[vgprValuC+68]   // finalSum = sum*alpha + C*beta
v_mul_lo_u32 v65, s[sgprBeta], v65                 // C = C*beta
_v_add_u32 v[vgprValuC+69], v65, v[vgprValuC+69]   // finalSum = sum*alpha + C*beta
v_mul_lo_u32 v66, s[sgprBeta], v66                 // C = C*beta
_v_add_u32 v[vgprValuC+70], v66, v[vgprValuC+70]   // finalSum = sum*alpha + C*beta
v_mul_lo_u32 v67, s[sgprBeta], v67                 // C = C*beta
_v_add_u32 v[vgprValuC+71], v67, v[vgprValuC+71]   // finalSum = sum*alpha + C*beta
_ds_store_b128 v7, v[68:71], offset:544            // storeRemap lw
	;; [unrolled: 11-line block ×4, first 2 shown]

/* Handle local read and global write */
s_waitcnt lgkmcnt(0)                               // wait for LDS write
s_barrier //wait all lds write finished

_ds_load_b128 v[16:19], v8, offset:0               // storeRemap lr
_ds_load_b128 v[20:23], v8, offset:1040            // storeRemap lr
_ds_load_b128 v[24:27], v8, offset:2080            // storeRemap lr
	;; [unrolled: 1-line block ×7, first 2 shown]

v_mov_b32 v13, v6                                  // coord1
v_mul_lo_u32 v13, v13, s[sgprStrideD1J]            // coord1 offset =  coord1 * StrideD
_v_add_lshl_u32 v13, v13, v4, 0x2                  // global write D address
s_waitcnt lgkmcnt(7)                               // wait for LDS read
_buffer_store_b128 v[16:19], v13, s[sgprSrdD:sgprSrdD+3], 0, offen, offset:0 // store D
_v_add_u32 v13, v6, 1                              // coord1 += nColPerLoad
v_mul_lo_u32 v13, v13, s[sgprStrideD1J]            // coord1 offset =  coord1 * StrideD
_v_add_lshl_u32 v13, v13, v4, 0x2                  // global write D address
s_waitcnt lgkmcnt(6)                               // wait for LDS read
_buffer_store_b128 v[20:23], v13, s[sgprSrdD:sgprSrdD+3], 0, offen, offset:0 // store D
_v_add_u32 v13, v6, 2                              // coord1 += nColPerLoad
v_mul_lo_u32 v13, v13, s[sgprStrideD1J]            // coord1 offset =  coord1 * StrideD
_v_add_lshl_u32 v13, v13, v4, 0x2                  // global write D address
s_waitcnt lgkmcnt(5)                               // wait for LDS read
_buffer_store_b128 v[24:27], v13, s[sgprSrdD:sgprSrdD+3], 0, offen, offset:0 // store D
_v_add_u32 v13, v6, 3                              // coord1 += nColPerLoad
v_mul_lo_u32 v13, v13, s[sgprStrideD1J]            // coord1 offset =  coord1 * StrideD
_v_add_lshl_u32 v13, v13, v4, 0x2                  // global write D address
s_waitcnt lgkmcnt(4)                               // wait for LDS read
_buffer_store_b128 v[28:31], v13, s[sgprSrdD:sgprSrdD+3], 0, offen, offset:0 // store D
_v_add_u32 v13, v6, 4                              // coord1 += nColPerLoad
v_mul_lo_u32 v13, v13, s[sgprStrideD1J]            // coord1 offset =  coord1 * StrideD
_v_add_lshl_u32 v13, v13, v4, 0x2                  // global write D address
s_waitcnt lgkmcnt(3)                               // wait for LDS read
_buffer_store_b128 v[32:35], v13, s[sgprSrdD:sgprSrdD+3], 0, offen, offset:0 // store D
_v_add_u32 v13, v6, 5                              // coord1 += nColPerLoad
v_mul_lo_u32 v13, v13, s[sgprStrideD1J]            // coord1 offset =  coord1 * StrideD
_v_add_lshl_u32 v13, v13, v4, 0x2                  // global write D address
s_waitcnt lgkmcnt(2)                               // wait for LDS read
_buffer_store_b128 v[36:39], v13, s[sgprSrdD:sgprSrdD+3], 0, offen, offset:0 // store D
_v_add_u32 v13, v6, 6                              // coord1 += nColPerLoad
v_mul_lo_u32 v13, v13, s[sgprStrideD1J]            // coord1 offset =  coord1 * StrideD
_v_add_lshl_u32 v13, v13, v4, 0x2                  // global write D address
s_waitcnt lgkmcnt(1)                               // wait for LDS read
_buffer_store_b128 v[40:43], v13, s[sgprSrdD:sgprSrdD+3], 0, offen, offset:0 // store D
_v_add_u32 v13, v6, 7                              // coord1 += nColPerLoad
v_mul_lo_u32 v13, v13, s[sgprStrideD1J]            // coord1 offset =  coord1 * StrideD
_v_add_lshl_u32 v13, v13, v4, 0x2                  // global write D address
s_waitcnt lgkmcnt(0)                               // wait for LDS read
_buffer_store_b128 v[52:55], v13, s[sgprSrdD:sgprSrdD+3], 0, offen, offset:0 // store D

s_barrier //wait all lds read finished
s_nop 0                                            // 1 wait state required when next inst writes vgprs held by previous dwordx4 store inst
/* optSingleColVgpr=1 optSharedColVgpr=0 optSGPRUsage=BufferLoad_Mask optSrdIncForRow=1 */

/******************************************/
/* Global Write Alpha Beta Batch #7 (d1,d0,vc1,vc0) = */
/*    (7,0,0,0:vw4); (7,1,0,0:vw4); (7,2,0,0:vw4); (7,3,0,0:vw4); (7,4,0,0:vw4); (7,5,0,0:vw4); (7,6,0,0:vw4); (7,7,0,0:vw4) */
/******************************************/

/* calc coords, apply mask, and issue loads (if necessary) */
/* (d1,vc1,d0,vc0)=(7,0,0,0) */
s_mul_i32 s32, s[sgprStrideC1J], 128               // scale StrideC *= numRows(32) * bpe
s_add_u32  s[sgprSrdC+0], s[sgprSrdC+0], s32       // incToNextRow: gra SRD += inc(lower)
s_addc_u32  s[sgprSrdC+1], s[sgprSrdC+1], 0        // incToNextRow: gra SRD += inc(upper)
_buffer_load_b128 v[16:19], v12, s[sgprSrdC:sgprSrdC+3], 0, offen offset:0 // load C for beta calc
/* (d1,vc1,d0,vc0)=(7,0,1,0) */
_buffer_load_b128 v[24:27], v12, s[sgprSrdC:sgprSrdC+3], 0, offen offset:32 // load C for beta calc
/* (d1,vc1,d0,vc0)=(7,0,2,0) */
	;; [unrolled: 2-line block ×7, first 2 shown]
_buffer_load_b128 v[80:83], v12, s[sgprSrdC:sgprSrdC+3], 0, offen offset:608 // load C for beta calc
v_accvgpr_read_b32 v[vgprValuC+20], acc224 // copy acc to vreg[224]
v_accvgpr_read_b32 v[vgprValuC+21], acc225 // copy acc to vreg[225]
v_accvgpr_read_b32 v[vgprValuC+22], acc226 // copy acc to vreg[226]
v_accvgpr_read_b32 v[vgprValuC+23], acc227 // copy acc to vreg[227]
v_accvgpr_read_b32 v[vgprValuC+28], acc228 // copy acc to vreg[228]
v_accvgpr_read_b32 v[vgprValuC+29], acc229 // copy acc to vreg[229]
v_accvgpr_read_b32 v[vgprValuC+30], acc230 // copy acc to vreg[230]
v_accvgpr_read_b32 v[vgprValuC+31], acc231 // copy acc to vreg[231]
v_accvgpr_read_b32 v[vgprValuC+36], acc232 // copy acc to vreg[232]
v_accvgpr_read_b32 v[vgprValuC+37], acc233 // copy acc to vreg[233]
v_accvgpr_read_b32 v[vgprValuC+38], acc234 // copy acc to vreg[234]
v_accvgpr_read_b32 v[vgprValuC+39], acc235 // copy acc to vreg[235]
v_accvgpr_read_b32 v[vgprValuC+52], acc236 // copy acc to vreg[236]
v_accvgpr_read_b32 v[vgprValuC+53], acc237 // copy acc to vreg[237]
v_accvgpr_read_b32 v[vgprValuC+54], acc238 // copy acc to vreg[238]
v_accvgpr_read_b32 v[vgprValuC+55], acc239 // copy acc to vreg[239]
v_accvgpr_read_b32 v[vgprValuC+60], acc240 // copy acc to vreg[240]
v_accvgpr_read_b32 v[vgprValuC+61], acc241 // copy acc to vreg[241]
v_accvgpr_read_b32 v[vgprValuC+62], acc242 // copy acc to vreg[242]
v_accvgpr_read_b32 v[vgprValuC+63], acc243 // copy acc to vreg[243]
v_accvgpr_read_b32 v[vgprValuC+68], acc244 // copy acc to vreg[244]
v_accvgpr_read_b32 v[vgprValuC+69], acc245 // copy acc to vreg[245]
v_accvgpr_read_b32 v[vgprValuC+70], acc246 // copy acc to vreg[246]
v_accvgpr_read_b32 v[vgprValuC+71], acc247 // copy acc to vreg[247]
v_accvgpr_read_b32 v[vgprValuC+76], acc248 // copy acc to vreg[248]
v_accvgpr_read_b32 v[vgprValuC+77], acc249 // copy acc to vreg[249]
v_accvgpr_read_b32 v[vgprValuC+78], acc250 // copy acc to vreg[250]
v_accvgpr_read_b32 v[vgprValuC+79], acc251 // copy acc to vreg[251]
v_accvgpr_read_b32 v[vgprValuC+84], acc252 // copy acc to vreg[252]
v_accvgpr_read_b32 v[vgprValuC+85], acc253 // copy acc to vreg[253]
v_accvgpr_read_b32 v[vgprValuC+86], acc254 // copy acc to vreg[254]
v_accvgpr_read_b32 v[vgprValuC+87], acc255 // copy acc to vreg[255]
s_nop 1                                            // 2 wait states required before reading vgpr

/* rC *= alpha batchElements=[(7, 0, 0, 0), (7, 1, 0, 0), (7, 2, 0, 0), (7, 3, 0, 0), (7, 4, 0, 0), (7, 5, 0, 0), (7, 6, 0, 0), (7, 7, 0, 0)] */
v_mul_lo_u32 v[vgprValuC+20], s[sgprAlpha], v[vgprValuC+20] // *= alpha
v_mul_lo_u32 v[vgprValuC+21], s[sgprAlpha], v[vgprValuC+21] // *= alpha
	;; [unrolled: 1-line block ×32, first 2 shown]

/* apply mask, calc new C and issue writes */

/* StoreRemap: shift coord1 address */
s_mul_i32 s32, s[sgprStrideD1J], 128               // scale StrideD *= numRows(32) * bpe
s_add_u32  s[sgprSrdD+0], s[sgprSrdD+0], s32       // incToNextRow: gra SRD += inc(lower)
s_addc_u32  s[sgprSrdD+1], s[sgprSrdD+1], 0        // incToNextRow: gra SRD += inc(upper)
v_mov_b32 v10, 32                                  // set shift rows
_v_add_u32 v5, v5, v10                             // shift storeRemap coord1

s_waitcnt vmcnt(7)                                 // wait C (interleaved) 7 = 8 - 0 + 0 - 1
v_mul_lo_u32 v16, s[sgprBeta], v16                 // C = C*beta
_v_add_u32 v[vgprValuC+20], v16, v[vgprValuC+20]   // finalSum = sum*alpha + C*beta
v_mul_lo_u32 v17, s[sgprBeta], v17                 // C = C*beta
_v_add_u32 v[vgprValuC+21], v17, v[vgprValuC+21]   // finalSum = sum*alpha + C*beta
	;; [unrolled: 2-line block ×4, first 2 shown]
_ds_store_b128 v7, v[20:23], offset:0              // storeRemap lw

s_waitcnt vmcnt(6)                                 // wait C (interleaved) 6 = 8 - 1 + 0 - 1
v_mul_lo_u32 v24, s[sgprBeta], v24                 // C = C*beta
_v_add_u32 v[vgprValuC+28], v24, v[vgprValuC+28]   // finalSum = sum*alpha + C*beta
v_mul_lo_u32 v25, s[sgprBeta], v25                 // C = C*beta
_v_add_u32 v[vgprValuC+29], v25, v[vgprValuC+29]   // finalSum = sum*alpha + C*beta
v_mul_lo_u32 v26, s[sgprBeta], v26                 // C = C*beta
_v_add_u32 v[vgprValuC+30], v26, v[vgprValuC+30]   // finalSum = sum*alpha + C*beta
v_mul_lo_u32 v27, s[sgprBeta], v27                 // C = C*beta
_v_add_u32 v[vgprValuC+31], v27, v[vgprValuC+31]   // finalSum = sum*alpha + C*beta
_ds_store_b128 v7, v[28:31], offset:32             // storeRemap lw

s_waitcnt vmcnt(5)                                 // wait C (interleaved) 5 = 8 - 2 + 0 - 1
v_mul_lo_u32 v32, s[sgprBeta], v32                 // C = C*beta
_v_add_u32 v[vgprValuC+36], v32, v[vgprValuC+36]   // finalSum = sum*alpha + C*beta
v_mul_lo_u32 v33, s[sgprBeta], v33                 // C = C*beta
_v_add_u32 v[vgprValuC+37], v33, v[vgprValuC+37]   // finalSum = sum*alpha + C*beta
v_mul_lo_u32 v34, s[sgprBeta], v34                 // C = C*beta
_v_add_u32 v[vgprValuC+38], v34, v[vgprValuC+38]   // finalSum = sum*alpha + C*beta
v_mul_lo_u32 v35, s[sgprBeta], v35                 // C = C*beta
_v_add_u32 v[vgprValuC+39], v35, v[vgprValuC+39]   // finalSum = sum*alpha + C*beta
_ds_store_b128 v7, v[36:39], offset:64             // storeRemap lw
	;; [unrolled: 11-line block ×3, first 2 shown]

s_waitcnt vmcnt(3)                                 // wait C (interleaved) 3 = 8 - 4 + 0 - 1
v_mul_lo_u32 v56, s[sgprBeta], v56                 // C = C*beta
_v_add_u32 v[vgprValuC+60], v56, v[vgprValuC+60]   // finalSum = sum*alpha + C*beta
v_mul_lo_u32 v57, s[sgprBeta], v57                 // C = C*beta
_v_add_u32 v[vgprValuC+61], v57, v[vgprValuC+61]   // finalSum = sum*alpha + C*beta
v_mul_lo_u32 v58, s[sgprBeta], v58                 // C = C*beta
_v_add_u32 v[vgprValuC+62], v58, v[vgprValuC+62]   // finalSum = sum*alpha + C*beta
v_mul_lo_u32 v59, s[sgprBeta], v59                 // C = C*beta
_v_add_u32 v[vgprValuC+63], v59, v[vgprValuC+63]   // finalSum = sum*alpha + C*beta
_ds_store_b128 v7, v[60:63], offset:512            // storeRemap lw

s_waitcnt vmcnt(2)                                 // wait C (interleaved) 2 = 8 - 5 + 0 - 1
v_mul_lo_u32 v64, s[sgprBeta], v64                 // C = C*beta
_v_add_u32 v[vgprValuC+68], v64, v[vgprValuC+68]   // finalSum = sum*alpha + C*beta
v_mul_lo_u32 v65, s[sgprBeta], v65                 // C = C*beta
_v_add_u32 v[vgprValuC+69], v65, v[vgprValuC+69]   // finalSum = sum*alpha + C*beta
v_mul_lo_u32 v66, s[sgprBeta], v66                 // C = C*beta
_v_add_u32 v[vgprValuC+70], v66, v[vgprValuC+70]   // finalSum = sum*alpha + C*beta
v_mul_lo_u32 v67, s[sgprBeta], v67                 // C = C*beta
_v_add_u32 v[vgprValuC+71], v67, v[vgprValuC+71]   // finalSum = sum*alpha + C*beta
_ds_store_b128 v7, v[68:71], offset:544            // storeRemap lw
	;; [unrolled: 11-line block ×4, first 2 shown]

/* Handle local read and global write */
s_waitcnt lgkmcnt(0)                               // wait for LDS write
s_barrier //wait all lds write finished

_ds_load_b128 v[16:19], v8, offset:0               // storeRemap lr
_ds_load_b128 v[20:23], v8, offset:1040            // storeRemap lr
_ds_load_b128 v[24:27], v8, offset:2080            // storeRemap lr
	;; [unrolled: 1-line block ×7, first 2 shown]

v_mov_b32 v13, v6                                  // coord1
v_mul_lo_u32 v13, v13, s[sgprStrideD1J]            // coord1 offset =  coord1 * StrideD
_v_add_lshl_u32 v13, v13, v4, 0x2                  // global write D address
s_waitcnt lgkmcnt(7)                               // wait for LDS read
_buffer_store_b128 v[16:19], v13, s[sgprSrdD:sgprSrdD+3], 0, offen, offset:0 // store D
_v_add_u32 v13, v6, 1                              // coord1 += nColPerLoad
v_mul_lo_u32 v13, v13, s[sgprStrideD1J]            // coord1 offset =  coord1 * StrideD
_v_add_lshl_u32 v13, v13, v4, 0x2                  // global write D address
s_waitcnt lgkmcnt(6)                               // wait for LDS read
_buffer_store_b128 v[20:23], v13, s[sgprSrdD:sgprSrdD+3], 0, offen, offset:0 // store D
_v_add_u32 v13, v6, 2                              // coord1 += nColPerLoad
	;; [unrolled: 5-line block ×7, first 2 shown]
v_mul_lo_u32 v13, v13, s[sgprStrideD1J]            // coord1 offset =  coord1 * StrideD
_v_add_lshl_u32 v13, v13, v4, 0x2                  // global write D address
s_waitcnt lgkmcnt(0)                               // wait for LDS read
_buffer_store_b128 v[52:55], v13, s[sgprSrdD:sgprSrdD+3], 0, offen, offset:0 // store D

s_barrier //wait all lds read finished
s_nop 0                                            // 1 wait state required when next inst writes vgprs held by previous dwordx4 store inst
s_branch label_GW_End_178                          // jump to end
GW_B1_E1_177:

/* edge=1, allocate 6 sgpr. perBatchTmpS=4 perBatchMaskS=2 perElementMaskS=0 elementsPerBatch=8 */
/* optSingleColVgpr=0 optSharedColVgpr=0 optSGPRUsage=BufferLoad_Edge_Mask optSrdIncForRow=1 */

/******************************************/
/* Global Write Alpha Beta Edge Batch #0 (d1,d0,vc1,vc0) = */
/*    (0,0,0,0:vw4); (0,1,0,0:vw4); (0,2,0,0:vw4); (0,3,0,0:vw4); (0,4,0,0:vw4); (0,5,0,0:vw4); (0,6,0,0:vw4); (0,7,0,0:vw4) */
/******************************************/

/* calc coords, apply mask, and issue loads (if necessary) */
/* (d1,vc1,d0,vc0)=(0,0,0,0) */
v_cmp_lt_u32 s[52:53], v0, s[sgprSizeI]            // coord0 < size0
v_cmp_lt_u32 s[56:57], v1, s[sgprSizeJ]            // coord1 < size1
s_and_b64 s[56:57], s[52:53], s[56:57]             // in0 && in1
_v_add_lshl_u32 v9, v2, v0, 0x2                    // scaleToBpe: accumulate d0 lower and *= bpe into Cin addr
v_cndmask_b32 v9, -1, v9, s[56:57]                 // LDC clip if OOB. offset
_buffer_load_b128 v[12:15], v9, s[sgprSrdC:sgprSrdC+3], 0, offen offset:0 // load C for beta calc
_v_add_lshl_u32 v9, v3, v0, 0x2                    // scaleToBpe: accumulate d0 lower and *= bpe into Cin addr
v_cndmask_b32 v9, -1, v9, s[56:57]                 // LDD clip if OOB. offset
/* (d1,vc1,d0,vc0)=(0,0,1,0) */
_v_add_co_u32 v10, vcc, v0, 8                      // coord0.1: coord0 += d0*sg0*VW + vc0
v_cmp_lt_u32 s[52:53], v10, s[sgprSizeI]           // coord0 < size0
v_cmp_lt_u32 s[56:57], v1, s[sgprSizeJ]            // coord1 < size1
s_and_b64 s[56:57], s[52:53], s[56:57]             // in0 && in1
_v_add_lshl_u32 v20, v2, v10, 0x2                  // scaleToBpe: accumulate d0 lower and *= bpe into Cin addr
v_cndmask_b32 v20, -1, v20, s[56:57]               // LDC clip if OOB. offset
_buffer_load_b128 v[24:27], v20, s[sgprSrdC:sgprSrdC+3], 0, offen offset:0 // load C for beta calc
_v_add_lshl_u32 v20, v3, v10, 0x2                  // scaleToBpe: accumulate d0 lower and *= bpe into Cin addr
v_cndmask_b32 v20, -1, v20, s[56:57]               // LDD clip if OOB. offset
/* (d1,vc1,d0,vc0)=(0,0,2,0) */
_v_add_co_u32 v10, vcc, v0, 16                     // coord0.1: coord0 += d0*sg0*VW + vc0
v_cmp_lt_u32 s[52:53], v10, s[sgprSizeI]           // coord0 < size0
v_cmp_lt_u32 s[56:57], v1, s[sgprSizeJ]            // coord1 < size1
s_and_b64 s[56:57], s[52:53], s[56:57]             // in0 && in1
_v_add_lshl_u32 v21, v2, v10, 0x2                  // scaleToBpe: accumulate d0 lower and *= bpe into Cin addr
v_cndmask_b32 v21, -1, v21, s[56:57]               // LDC clip if OOB. offset
_buffer_load_b128 v[32:35], v21, s[sgprSrdC:sgprSrdC+3], 0, offen offset:0 // load C for beta calc
_v_add_lshl_u32 v21, v3, v10, 0x2                  // scaleToBpe: accumulate d0 lower and *= bpe into Cin addr
v_cndmask_b32 v21, -1, v21, s[56:57]               // LDD clip if OOB. offset
/* (d1,vc1,d0,vc0)=(0,0,3,0) */
_v_add_co_u32 v10, vcc, v0, 24                     // coord0.1: coord0 += d0*sg0*VW + vc0
v_cmp_lt_u32 s[52:53], v10, s[sgprSizeI]           // coord0 < size0
v_cmp_lt_u32 s[56:57], v1, s[sgprSizeJ]            // coord1 < size1
s_and_b64 s[56:57], s[52:53], s[56:57]             // in0 && in1
_v_add_lshl_u32 v22, v2, v10, 0x2                  // scaleToBpe: accumulate d0 lower and *= bpe into Cin addr
v_cndmask_b32 v22, -1, v22, s[56:57]               // LDC clip if OOB. offset
_buffer_load_b128 v[40:43], v22, s[sgprSrdC:sgprSrdC+3], 0, offen offset:0 // load C for beta calc
_v_add_lshl_u32 v22, v3, v10, 0x2                  // scaleToBpe: accumulate d0 lower and *= bpe into Cin addr
v_cndmask_b32 v22, -1, v22, s[56:57]               // LDD clip if OOB. offset
/* (d1,vc1,d0,vc0)=(0,0,4,0) */
s_mov_b32 s52, 128                                 // coordOffset0 d0=4 vc0=0
_v_add_co_u32 v10, vcc, v0, s52                    // coord0.2: coord0 += d0*sg0*VW + vc0
v_cmp_lt_u32 s[52:53], v10, s[sgprSizeI]           // coord0 < size0
v_cmp_lt_u32 s[56:57], v1, s[sgprSizeJ]            // coord1 < size1
s_and_b64 s[56:57], s[52:53], s[56:57]             // in0 && in1
_v_add_lshl_u32 v23, v2, v10, 0x2                  // scaleToBpe: accumulate d0 lower and *= bpe into Cin addr
v_cndmask_b32 v23, -1, v23, s[56:57]               // LDC clip if OOB. offset
_buffer_load_b128 v[56:59], v23, s[sgprSrdC:sgprSrdC+3], 0, offen offset:0 // load C for beta calc
_v_add_lshl_u32 v23, v3, v10, 0x2                  // scaleToBpe: accumulate d0 lower and *= bpe into Cin addr
v_cndmask_b32 v23, -1, v23, s[56:57]               // LDD clip if OOB. offset
/* (d1,vc1,d0,vc0)=(0,0,5,0) */
s_mov_b32 s52, 136                                 // coordOffset0 d0=5 vc0=0
_v_add_co_u32 v10, vcc, v0, s52                    // coord0.2: coord0 += d0*sg0*VW + vc0
	;; [unrolled: 11-line block ×4, first 2 shown]
v_cmp_lt_u32 s[52:53], v10, s[sgprSizeI]           // coord0 < size0
v_cmp_lt_u32 s[56:57], v1, s[sgprSizeJ]            // coord1 < size1
s_and_b64 s[56:57], s[52:53], s[56:57]             // in0 && in1
_v_add_lshl_u32 v49, v2, v10, 0x2                  // scaleToBpe: accumulate d0 lower and *= bpe into Cin addr
v_cndmask_b32 v49, -1, v49, s[56:57]               // LDC clip if OOB. offset
_buffer_load_b128 v[80:83], v49, s[sgprSrdC:sgprSrdC+3], 0, offen offset:0 // load C for beta calc
_v_add_lshl_u32 v49, v3, v10, 0x2                  // scaleToBpe: accumulate d0 lower and *= bpe into Cin addr
v_cndmask_b32 v49, -1, v49, s[56:57]               // LDD clip if OOB. offset
v_accvgpr_read_b32 v[vgprValuC+16], acc0 // copy acc to vreg[0]
v_accvgpr_read_b32 v[vgprValuC+17], acc1 // copy acc to vreg[1]
v_accvgpr_read_b32 v[vgprValuC+18], acc2 // copy acc to vreg[2]
v_accvgpr_read_b32 v[vgprValuC+19], acc3 // copy acc to vreg[3]
v_accvgpr_read_b32 v[vgprValuC+28], acc4 // copy acc to vreg[4]
v_accvgpr_read_b32 v[vgprValuC+29], acc5 // copy acc to vreg[5]
v_accvgpr_read_b32 v[vgprValuC+30], acc6 // copy acc to vreg[6]
v_accvgpr_read_b32 v[vgprValuC+31], acc7 // copy acc to vreg[7]
v_accvgpr_read_b32 v[vgprValuC+36], acc8 // copy acc to vreg[8]
v_accvgpr_read_b32 v[vgprValuC+37], acc9 // copy acc to vreg[9]
v_accvgpr_read_b32 v[vgprValuC+38], acc10 // copy acc to vreg[10]
v_accvgpr_read_b32 v[vgprValuC+39], acc11 // copy acc to vreg[11]
v_accvgpr_read_b32 v[vgprValuC+52], acc12 // copy acc to vreg[12]
v_accvgpr_read_b32 v[vgprValuC+53], acc13 // copy acc to vreg[13]
v_accvgpr_read_b32 v[vgprValuC+54], acc14 // copy acc to vreg[14]
v_accvgpr_read_b32 v[vgprValuC+55], acc15 // copy acc to vreg[15]
v_accvgpr_read_b32 v[vgprValuC+60], acc16 // copy acc to vreg[16]
v_accvgpr_read_b32 v[vgprValuC+61], acc17 // copy acc to vreg[17]
v_accvgpr_read_b32 v[vgprValuC+62], acc18 // copy acc to vreg[18]
v_accvgpr_read_b32 v[vgprValuC+63], acc19 // copy acc to vreg[19]
v_accvgpr_read_b32 v[vgprValuC+68], acc20 // copy acc to vreg[20]
v_accvgpr_read_b32 v[vgprValuC+69], acc21 // copy acc to vreg[21]
v_accvgpr_read_b32 v[vgprValuC+70], acc22 // copy acc to vreg[22]
v_accvgpr_read_b32 v[vgprValuC+71], acc23 // copy acc to vreg[23]
v_accvgpr_read_b32 v[vgprValuC+76], acc24 // copy acc to vreg[24]
v_accvgpr_read_b32 v[vgprValuC+77], acc25 // copy acc to vreg[25]
v_accvgpr_read_b32 v[vgprValuC+78], acc26 // copy acc to vreg[26]
v_accvgpr_read_b32 v[vgprValuC+79], acc27 // copy acc to vreg[27]
v_accvgpr_read_b32 v[vgprValuC+84], acc28 // copy acc to vreg[28]
v_accvgpr_read_b32 v[vgprValuC+85], acc29 // copy acc to vreg[29]
v_accvgpr_read_b32 v[vgprValuC+86], acc30 // copy acc to vreg[30]
v_accvgpr_read_b32 v[vgprValuC+87], acc31 // copy acc to vreg[31]
s_nop 1                                            // 2 wait states required before reading vgpr

/* rC *= alpha batchElements=[(0, 0, 0, 0), (0, 1, 0, 0), (0, 2, 0, 0), (0, 3, 0, 0), (0, 4, 0, 0), (0, 5, 0, 0), (0, 6, 0, 0), (0, 7, 0, 0)] */
v_mul_lo_u32 v[vgprValuC+16], s[sgprAlpha], v[vgprValuC+16] // *= alpha
v_mul_lo_u32 v[vgprValuC+17], s[sgprAlpha], v[vgprValuC+17] // *= alpha
	;; [unrolled: 1-line block ×32, first 2 shown]
s_waitcnt vmcnt(0)                                 // wait C

/* apply mask, calc new C and issue writes */
v_mul_lo_u32 v12, s[sgprBeta], v12                 // C = C*beta
_v_add_u32 v[vgprValuC+16], v12, v[vgprValuC+16]   // finalSum = sum*alpha + C*beta
v_mul_lo_u32 v13, s[sgprBeta], v13                 // C = C*beta
_v_add_u32 v[vgprValuC+17], v13, v[vgprValuC+17]   // finalSum = sum*alpha + C*beta
	;; [unrolled: 2-line block ×4, first 2 shown]
_ds_store_b128 v7, v[16:19], offset:0              // storeRemap lw
v_mul_lo_u32 v24, s[sgprBeta], v24                 // C = C*beta
_v_add_u32 v[vgprValuC+28], v24, v[vgprValuC+28]   // finalSum = sum*alpha + C*beta
v_mul_lo_u32 v25, s[sgprBeta], v25                 // C = C*beta
_v_add_u32 v[vgprValuC+29], v25, v[vgprValuC+29]   // finalSum = sum*alpha + C*beta
v_mul_lo_u32 v26, s[sgprBeta], v26                 // C = C*beta
_v_add_u32 v[vgprValuC+30], v26, v[vgprValuC+30]   // finalSum = sum*alpha + C*beta
v_mul_lo_u32 v27, s[sgprBeta], v27                 // C = C*beta
_v_add_u32 v[vgprValuC+31], v27, v[vgprValuC+31]   // finalSum = sum*alpha + C*beta
_ds_store_b128 v7, v[28:31], offset:32             // storeRemap lw
v_mul_lo_u32 v32, s[sgprBeta], v32                 // C = C*beta
_v_add_u32 v[vgprValuC+36], v32, v[vgprValuC+36]   // finalSum = sum*alpha + C*beta
v_mul_lo_u32 v33, s[sgprBeta], v33                 // C = C*beta
_v_add_u32 v[vgprValuC+37], v33, v[vgprValuC+37]   // finalSum = sum*alpha + C*beta
v_mul_lo_u32 v34, s[sgprBeta], v34                 // C = C*beta
_v_add_u32 v[vgprValuC+38], v34, v[vgprValuC+38]   // finalSum = sum*alpha + C*beta
v_mul_lo_u32 v35, s[sgprBeta], v35                 // C = C*beta
_v_add_u32 v[vgprValuC+39], v35, v[vgprValuC+39]   // finalSum = sum*alpha + C*beta
_ds_store_b128 v7, v[36:39], offset:64             // storeRemap lw
	;; [unrolled: 9-line block ×3, first 2 shown]
v_mul_lo_u32 v56, s[sgprBeta], v56                 // C = C*beta
_v_add_u32 v[vgprValuC+60], v56, v[vgprValuC+60]   // finalSum = sum*alpha + C*beta
v_mul_lo_u32 v57, s[sgprBeta], v57                 // C = C*beta
_v_add_u32 v[vgprValuC+61], v57, v[vgprValuC+61]   // finalSum = sum*alpha + C*beta
v_mul_lo_u32 v58, s[sgprBeta], v58                 // C = C*beta
_v_add_u32 v[vgprValuC+62], v58, v[vgprValuC+62]   // finalSum = sum*alpha + C*beta
v_mul_lo_u32 v59, s[sgprBeta], v59                 // C = C*beta
_v_add_u32 v[vgprValuC+63], v59, v[vgprValuC+63]   // finalSum = sum*alpha + C*beta
_ds_store_b128 v7, v[60:63], offset:512            // storeRemap lw
v_mul_lo_u32 v64, s[sgprBeta], v64                 // C = C*beta
_v_add_u32 v[vgprValuC+68], v64, v[vgprValuC+68]   // finalSum = sum*alpha + C*beta
v_mul_lo_u32 v65, s[sgprBeta], v65                 // C = C*beta
_v_add_u32 v[vgprValuC+69], v65, v[vgprValuC+69]   // finalSum = sum*alpha + C*beta
v_mul_lo_u32 v66, s[sgprBeta], v66                 // C = C*beta
_v_add_u32 v[vgprValuC+70], v66, v[vgprValuC+70]   // finalSum = sum*alpha + C*beta
v_mul_lo_u32 v67, s[sgprBeta], v67                 // C = C*beta
_v_add_u32 v[vgprValuC+71], v67, v[vgprValuC+71]   // finalSum = sum*alpha + C*beta
_ds_store_b128 v7, v[68:71], offset:544            // storeRemap lw
	;; [unrolled: 9-line block ×4, first 2 shown]

/* Handle local read and global write */
s_waitcnt lgkmcnt(0)                               // wait for LDS write
s_barrier //wait all lds write finished

_ds_load_b128 v[12:15], v8, offset:0               // storeRemap lr
_ds_load_b128 v[16:19], v8, offset:1040            // storeRemap lr
_ds_load_b128 v[20:23], v8, offset:2080            // storeRemap lr
	;; [unrolled: 1-line block ×7, first 2 shown]

s_waitcnt lgkmcnt(7)                               // wait for LDS read
_v_add_u32 v11, v5, 0                              // coord1 += nColPerLoad
_v_add_u32 v10, v4, 0                              // coord0 += element index of load vector
_v_add_u32 v9, v6, 0                               // offset coord1 += nColPerLoad
v_cmp_lt_u32 s[52:53], v10, s[sgprSizeI]           // coord0 < size0
v_cmp_lt_u32 s[54:55], v11, s[sgprSizeJ]           // coord1 < size1
s_and_b64 s[54:55], s[52:53], s[54:55]             // in0 && in1
v_mul_lo_u32 v9, v9, s[sgprStrideD1J]              // coord1 element offset =  coord1 * StrideD
_v_add_lshl_u32 v9, v9, v10, 0x2                   // scale to BPE
v_cndmask_b32 v9, -1, v9, s[54:55]                 // clip if OOB. offset
_buffer_store_b128 v[12:15], v9, s[sgprSrdD:sgprSrdD+3], 0, offen, offset:0 // store D
s_waitcnt lgkmcnt(6)                               // wait for LDS read
_v_add_u32 v11, v5, 1                              // coord1 += nColPerLoad
_v_add_u32 v10, v4, 0                              // coord0 += element index of load vector
_v_add_u32 v9, v6, 1                               // offset coord1 += nColPerLoad
v_cmp_lt_u32 s[52:53], v10, s[sgprSizeI]           // coord0 < size0
v_cmp_lt_u32 s[54:55], v11, s[sgprSizeJ]           // coord1 < size1
s_and_b64 s[54:55], s[52:53], s[54:55]             // in0 && in1
v_mul_lo_u32 v9, v9, s[sgprStrideD1J]              // coord1 element offset =  coord1 * StrideD
_v_add_lshl_u32 v9, v9, v10, 0x2                   // scale to BPE
v_cndmask_b32 v9, -1, v9, s[54:55]                 // clip if OOB. offset
_buffer_store_b128 v[16:19], v9, s[sgprSrdD:sgprSrdD+3], 0, offen, offset:0 // store D
	;; [unrolled: 11-line block ×8, first 2 shown]

s_barrier //wait all lds read finished
s_nop 0                                            // 1 wait state required when next inst writes vgprs held by previous dwordx4 store inst
/* optSingleColVgpr=0 optSharedColVgpr=0 optSGPRUsage=BufferLoad_Edge_Mask optSrdIncForRow=1 */

/******************************************/
/* Global Write Alpha Beta Edge Batch #1 (d1,d0,vc1,vc0) = */
/*    (1,0,0,0:vw4); (1,1,0,0:vw4); (1,2,0,0:vw4); (1,3,0,0:vw4); (1,4,0,0:vw4); (1,5,0,0:vw4); (1,6,0,0:vw4); (1,7,0,0:vw4) */
/******************************************/

/* calc coords, apply mask, and issue loads (if necessary) */
/* (d1,vc1,d0,vc0)=(1,0,0,0) */
_v_add_co_u32 v1, vcc, v1, 32                      // coord1.1: coord1Vgpr += d1*sg1*VW + vc1
v_cmp_lt_u32 s[52:53], v0, s[sgprSizeI]            // coord0 < size0
v_cmp_lt_u32 s[56:57], v1, s[sgprSizeJ]            // coord1 < size1
s_and_b64 s[56:57], s[52:53], s[56:57]             // in0 && in1
_v_add_lshl_u32 v9, v2, v0, 0x2                    // scaleToBpe: accumulate d0 lower and *= bpe into Cin addr
v_cndmask_b32 v9, -1, v9, s[56:57]                 // LDC clip if OOB. offset
s_mul_i32 s52, s[sgprStrideC1J], 128               // scale StrideC *= numRows(32) * bpe
s_add_u32  s[sgprSrdC+0], s[sgprSrdC+0], s52       // incToNextRow: gra SRD += inc(lower)
s_addc_u32  s[sgprSrdC+1], s[sgprSrdC+1], 0        // incToNextRow: gra SRD += inc(upper)
_buffer_load_b128 v[12:15], v9, s[sgprSrdC:sgprSrdC+3], 0, offen offset:0 // load C for beta calc
_v_add_lshl_u32 v9, v3, v0, 0x2                    // scaleToBpe: accumulate d0 lower and *= bpe into Cin addr
v_cndmask_b32 v9, -1, v9, s[56:57]                 // LDD clip if OOB. offset
/* (d1,vc1,d0,vc0)=(1,0,1,0) */
_v_add_co_u32 v10, vcc, v0, 8                      // coord0.1: coord0 += d0*sg0*VW + vc0
v_cmp_lt_u32 s[52:53], v10, s[sgprSizeI]           // coord0 < size0
v_cmp_lt_u32 s[56:57], v1, s[sgprSizeJ]            // coord1 < size1
s_and_b64 s[56:57], s[52:53], s[56:57]             // in0 && in1
_v_add_lshl_u32 v20, v2, v10, 0x2                  // scaleToBpe: accumulate d0 lower and *= bpe into Cin addr
v_cndmask_b32 v20, -1, v20, s[56:57]               // LDC clip if OOB. offset
_buffer_load_b128 v[24:27], v20, s[sgprSrdC:sgprSrdC+3], 0, offen offset:0 // load C for beta calc
_v_add_lshl_u32 v20, v3, v10, 0x2                  // scaleToBpe: accumulate d0 lower and *= bpe into Cin addr
v_cndmask_b32 v20, -1, v20, s[56:57]               // LDD clip if OOB. offset
/* (d1,vc1,d0,vc0)=(1,0,2,0) */
_v_add_co_u32 v10, vcc, v0, 16                     // coord0.1: coord0 += d0*sg0*VW + vc0
v_cmp_lt_u32 s[52:53], v10, s[sgprSizeI]           // coord0 < size0
v_cmp_lt_u32 s[56:57], v1, s[sgprSizeJ]            // coord1 < size1
s_and_b64 s[56:57], s[52:53], s[56:57]             // in0 && in1
_v_add_lshl_u32 v21, v2, v10, 0x2                  // scaleToBpe: accumulate d0 lower and *= bpe into Cin addr
v_cndmask_b32 v21, -1, v21, s[56:57]               // LDC clip if OOB. offset
_buffer_load_b128 v[32:35], v21, s[sgprSrdC:sgprSrdC+3], 0, offen offset:0 // load C for beta calc
_v_add_lshl_u32 v21, v3, v10, 0x2                  // scaleToBpe: accumulate d0 lower and *= bpe into Cin addr
v_cndmask_b32 v21, -1, v21, s[56:57]               // LDD clip if OOB. offset
/* (d1,vc1,d0,vc0)=(1,0,3,0) */
_v_add_co_u32 v10, vcc, v0, 24                     // coord0.1: coord0 += d0*sg0*VW + vc0
v_cmp_lt_u32 s[52:53], v10, s[sgprSizeI]           // coord0 < size0
v_cmp_lt_u32 s[56:57], v1, s[sgprSizeJ]            // coord1 < size1
s_and_b64 s[56:57], s[52:53], s[56:57]             // in0 && in1
_v_add_lshl_u32 v22, v2, v10, 0x2                  // scaleToBpe: accumulate d0 lower and *= bpe into Cin addr
v_cndmask_b32 v22, -1, v22, s[56:57]               // LDC clip if OOB. offset
_buffer_load_b128 v[40:43], v22, s[sgprSrdC:sgprSrdC+3], 0, offen offset:0 // load C for beta calc
_v_add_lshl_u32 v22, v3, v10, 0x2                  // scaleToBpe: accumulate d0 lower and *= bpe into Cin addr
v_cndmask_b32 v22, -1, v22, s[56:57]               // LDD clip if OOB. offset
/* (d1,vc1,d0,vc0)=(1,0,4,0) */
s_mov_b32 s52, 128                                 // coordOffset0 d0=4 vc0=0
_v_add_co_u32 v10, vcc, v0, s52                    // coord0.2: coord0 += d0*sg0*VW + vc0
v_cmp_lt_u32 s[52:53], v10, s[sgprSizeI]           // coord0 < size0
v_cmp_lt_u32 s[56:57], v1, s[sgprSizeJ]            // coord1 < size1
s_and_b64 s[56:57], s[52:53], s[56:57]             // in0 && in1
_v_add_lshl_u32 v23, v2, v10, 0x2                  // scaleToBpe: accumulate d0 lower and *= bpe into Cin addr
v_cndmask_b32 v23, -1, v23, s[56:57]               // LDC clip if OOB. offset
_buffer_load_b128 v[56:59], v23, s[sgprSrdC:sgprSrdC+3], 0, offen offset:0 // load C for beta calc
_v_add_lshl_u32 v23, v3, v10, 0x2                  // scaleToBpe: accumulate d0 lower and *= bpe into Cin addr
v_cndmask_b32 v23, -1, v23, s[56:57]               // LDD clip if OOB. offset
/* (d1,vc1,d0,vc0)=(1,0,5,0) */
s_mov_b32 s52, 136                                 // coordOffset0 d0=5 vc0=0
_v_add_co_u32 v10, vcc, v0, s52                    // coord0.2: coord0 += d0*sg0*VW + vc0
v_cmp_lt_u32 s[52:53], v10, s[sgprSizeI]           // coord0 < size0
v_cmp_lt_u32 s[56:57], v1, s[sgprSizeJ]            // coord1 < size1
s_and_b64 s[56:57], s[52:53], s[56:57]             // in0 && in1
_v_add_lshl_u32 v44, v2, v10, 0x2                  // scaleToBpe: accumulate d0 lower and *= bpe into Cin addr
v_cndmask_b32 v44, -1, v44, s[56:57]               // LDC clip if OOB. offset
_buffer_load_b128 v[64:67], v44, s[sgprSrdC:sgprSrdC+3], 0, offen offset:0 // load C for beta calc
_v_add_lshl_u32 v44, v3, v10, 0x2                  // scaleToBpe: accumulate d0 lower and *= bpe into Cin addr
v_cndmask_b32 v44, -1, v44, s[56:57]               // LDD clip if OOB. offset
/* (d1,vc1,d0,vc0)=(1,0,6,0) */
s_mov_b32 s52, 144                                 // coordOffset0 d0=6 vc0=0
_v_add_co_u32 v10, vcc, v0, s52                    // coord0.2: coord0 += d0*sg0*VW + vc0
v_cmp_lt_u32 s[52:53], v10, s[sgprSizeI]           // coord0 < size0
v_cmp_lt_u32 s[56:57], v1, s[sgprSizeJ]            // coord1 < size1
s_and_b64 s[56:57], s[52:53], s[56:57]             // in0 && in1
_v_add_lshl_u32 v45, v2, v10, 0x2                  // scaleToBpe: accumulate d0 lower and *= bpe into Cin addr
v_cndmask_b32 v45, -1, v45, s[56:57]               // LDC clip if OOB. offset
_buffer_load_b128 v[72:75], v45, s[sgprSrdC:sgprSrdC+3], 0, offen offset:0 // load C for beta calc
_v_add_lshl_u32 v45, v3, v10, 0x2                  // scaleToBpe: accumulate d0 lower and *= bpe into Cin addr
v_cndmask_b32 v45, -1, v45, s[56:57]               // LDD clip if OOB. offset
/* (d1,vc1,d0,vc0)=(1,0,7,0) */
s_mov_b32 s52, 152                                 // coordOffset0 d0=7 vc0=0
_v_add_co_u32 v10, vcc, v0, s52                    // coord0.2: coord0 += d0*sg0*VW + vc0
v_cmp_lt_u32 s[52:53], v10, s[sgprSizeI]           // coord0 < size0
v_cmp_lt_u32 s[56:57], v1, s[sgprSizeJ]            // coord1 < size1
s_and_b64 s[56:57], s[52:53], s[56:57]             // in0 && in1
_v_add_lshl_u32 v49, v2, v10, 0x2                  // scaleToBpe: accumulate d0 lower and *= bpe into Cin addr
v_cndmask_b32 v49, -1, v49, s[56:57]               // LDC clip if OOB. offset
_buffer_load_b128 v[80:83], v49, s[sgprSrdC:sgprSrdC+3], 0, offen offset:0 // load C for beta calc
_v_add_lshl_u32 v49, v3, v10, 0x2                  // scaleToBpe: accumulate d0 lower and *= bpe into Cin addr
v_cndmask_b32 v49, -1, v49, s[56:57]               // LDD clip if OOB. offset
v_accvgpr_read_b32 v[vgprValuC+16], acc32 // copy acc to vreg[32]
v_accvgpr_read_b32 v[vgprValuC+17], acc33 // copy acc to vreg[33]
v_accvgpr_read_b32 v[vgprValuC+18], acc34 // copy acc to vreg[34]
v_accvgpr_read_b32 v[vgprValuC+19], acc35 // copy acc to vreg[35]
v_accvgpr_read_b32 v[vgprValuC+28], acc36 // copy acc to vreg[36]
v_accvgpr_read_b32 v[vgprValuC+29], acc37 // copy acc to vreg[37]
v_accvgpr_read_b32 v[vgprValuC+30], acc38 // copy acc to vreg[38]
v_accvgpr_read_b32 v[vgprValuC+31], acc39 // copy acc to vreg[39]
v_accvgpr_read_b32 v[vgprValuC+36], acc40 // copy acc to vreg[40]
v_accvgpr_read_b32 v[vgprValuC+37], acc41 // copy acc to vreg[41]
v_accvgpr_read_b32 v[vgprValuC+38], acc42 // copy acc to vreg[42]
v_accvgpr_read_b32 v[vgprValuC+39], acc43 // copy acc to vreg[43]
v_accvgpr_read_b32 v[vgprValuC+52], acc44 // copy acc to vreg[44]
v_accvgpr_read_b32 v[vgprValuC+53], acc45 // copy acc to vreg[45]
v_accvgpr_read_b32 v[vgprValuC+54], acc46 // copy acc to vreg[46]
v_accvgpr_read_b32 v[vgprValuC+55], acc47 // copy acc to vreg[47]
v_accvgpr_read_b32 v[vgprValuC+60], acc48 // copy acc to vreg[48]
v_accvgpr_read_b32 v[vgprValuC+61], acc49 // copy acc to vreg[49]
v_accvgpr_read_b32 v[vgprValuC+62], acc50 // copy acc to vreg[50]
v_accvgpr_read_b32 v[vgprValuC+63], acc51 // copy acc to vreg[51]
v_accvgpr_read_b32 v[vgprValuC+68], acc52 // copy acc to vreg[52]
v_accvgpr_read_b32 v[vgprValuC+69], acc53 // copy acc to vreg[53]
v_accvgpr_read_b32 v[vgprValuC+70], acc54 // copy acc to vreg[54]
v_accvgpr_read_b32 v[vgprValuC+71], acc55 // copy acc to vreg[55]
v_accvgpr_read_b32 v[vgprValuC+76], acc56 // copy acc to vreg[56]
v_accvgpr_read_b32 v[vgprValuC+77], acc57 // copy acc to vreg[57]
v_accvgpr_read_b32 v[vgprValuC+78], acc58 // copy acc to vreg[58]
v_accvgpr_read_b32 v[vgprValuC+79], acc59 // copy acc to vreg[59]
v_accvgpr_read_b32 v[vgprValuC+84], acc60 // copy acc to vreg[60]
v_accvgpr_read_b32 v[vgprValuC+85], acc61 // copy acc to vreg[61]
v_accvgpr_read_b32 v[vgprValuC+86], acc62 // copy acc to vreg[62]
v_accvgpr_read_b32 v[vgprValuC+87], acc63 // copy acc to vreg[63]
s_nop 1                                            // 2 wait states required before reading vgpr

/* rC *= alpha batchElements=[(1, 0, 0, 0), (1, 1, 0, 0), (1, 2, 0, 0), (1, 3, 0, 0), (1, 4, 0, 0), (1, 5, 0, 0), (1, 6, 0, 0), (1, 7, 0, 0)] */
v_mul_lo_u32 v[vgprValuC+16], s[sgprAlpha], v[vgprValuC+16] // *= alpha
v_mul_lo_u32 v[vgprValuC+17], s[sgprAlpha], v[vgprValuC+17] // *= alpha
	;; [unrolled: 1-line block ×32, first 2 shown]
s_waitcnt vmcnt(0)                                 // wait C

/* apply mask, calc new C and issue writes */

/* StoreRemap: shift coord1 address */
s_mul_i32 s52, s[sgprStrideD1J], 128               // scale StrideD *= numRows(32) * bpe
s_add_u32  s[sgprSrdD+0], s[sgprSrdD+0], s52       // incToNextRow: gra SRD += inc(lower)
s_addc_u32  s[sgprSrdD+1], s[sgprSrdD+1], 0        // incToNextRow: gra SRD += inc(upper)
v_mov_b32 v10, 32                                  // set shift rows
_v_add_u32 v5, v5, v10                             // shift storeRemap coord1
v_mul_lo_u32 v12, s[sgprBeta], v12                 // C = C*beta
_v_add_u32 v[vgprValuC+16], v12, v[vgprValuC+16]   // finalSum = sum*alpha + C*beta
v_mul_lo_u32 v13, s[sgprBeta], v13                 // C = C*beta
_v_add_u32 v[vgprValuC+17], v13, v[vgprValuC+17]   // finalSum = sum*alpha + C*beta
	;; [unrolled: 2-line block ×4, first 2 shown]
_ds_store_b128 v7, v[16:19], offset:0              // storeRemap lw
v_mul_lo_u32 v24, s[sgprBeta], v24                 // C = C*beta
_v_add_u32 v[vgprValuC+28], v24, v[vgprValuC+28]   // finalSum = sum*alpha + C*beta
v_mul_lo_u32 v25, s[sgprBeta], v25                 // C = C*beta
_v_add_u32 v[vgprValuC+29], v25, v[vgprValuC+29]   // finalSum = sum*alpha + C*beta
v_mul_lo_u32 v26, s[sgprBeta], v26                 // C = C*beta
_v_add_u32 v[vgprValuC+30], v26, v[vgprValuC+30]   // finalSum = sum*alpha + C*beta
v_mul_lo_u32 v27, s[sgprBeta], v27                 // C = C*beta
_v_add_u32 v[vgprValuC+31], v27, v[vgprValuC+31]   // finalSum = sum*alpha + C*beta
_ds_store_b128 v7, v[28:31], offset:32             // storeRemap lw
v_mul_lo_u32 v32, s[sgprBeta], v32                 // C = C*beta
_v_add_u32 v[vgprValuC+36], v32, v[vgprValuC+36]   // finalSum = sum*alpha + C*beta
v_mul_lo_u32 v33, s[sgprBeta], v33                 // C = C*beta
_v_add_u32 v[vgprValuC+37], v33, v[vgprValuC+37]   // finalSum = sum*alpha + C*beta
v_mul_lo_u32 v34, s[sgprBeta], v34                 // C = C*beta
_v_add_u32 v[vgprValuC+38], v34, v[vgprValuC+38]   // finalSum = sum*alpha + C*beta
v_mul_lo_u32 v35, s[sgprBeta], v35                 // C = C*beta
_v_add_u32 v[vgprValuC+39], v35, v[vgprValuC+39]   // finalSum = sum*alpha + C*beta
_ds_store_b128 v7, v[36:39], offset:64             // storeRemap lw
	;; [unrolled: 9-line block ×3, first 2 shown]
v_mul_lo_u32 v56, s[sgprBeta], v56                 // C = C*beta
_v_add_u32 v[vgprValuC+60], v56, v[vgprValuC+60]   // finalSum = sum*alpha + C*beta
v_mul_lo_u32 v57, s[sgprBeta], v57                 // C = C*beta
_v_add_u32 v[vgprValuC+61], v57, v[vgprValuC+61]   // finalSum = sum*alpha + C*beta
v_mul_lo_u32 v58, s[sgprBeta], v58                 // C = C*beta
_v_add_u32 v[vgprValuC+62], v58, v[vgprValuC+62]   // finalSum = sum*alpha + C*beta
v_mul_lo_u32 v59, s[sgprBeta], v59                 // C = C*beta
_v_add_u32 v[vgprValuC+63], v59, v[vgprValuC+63]   // finalSum = sum*alpha + C*beta
_ds_store_b128 v7, v[60:63], offset:512            // storeRemap lw
v_mul_lo_u32 v64, s[sgprBeta], v64                 // C = C*beta
_v_add_u32 v[vgprValuC+68], v64, v[vgprValuC+68]   // finalSum = sum*alpha + C*beta
v_mul_lo_u32 v65, s[sgprBeta], v65                 // C = C*beta
_v_add_u32 v[vgprValuC+69], v65, v[vgprValuC+69]   // finalSum = sum*alpha + C*beta
v_mul_lo_u32 v66, s[sgprBeta], v66                 // C = C*beta
_v_add_u32 v[vgprValuC+70], v66, v[vgprValuC+70]   // finalSum = sum*alpha + C*beta
v_mul_lo_u32 v67, s[sgprBeta], v67                 // C = C*beta
_v_add_u32 v[vgprValuC+71], v67, v[vgprValuC+71]   // finalSum = sum*alpha + C*beta
_ds_store_b128 v7, v[68:71], offset:544            // storeRemap lw
v_mul_lo_u32 v72, s[sgprBeta], v72                 // C = C*beta
_v_add_u32 v[vgprValuC+76], v72, v[vgprValuC+76]   // finalSum = sum*alpha + C*beta
v_mul_lo_u32 v73, s[sgprBeta], v73                 // C = C*beta
_v_add_u32 v[vgprValuC+77], v73, v[vgprValuC+77]   // finalSum = sum*alpha + C*beta
v_mul_lo_u32 v74, s[sgprBeta], v74                 // C = C*beta
_v_add_u32 v[vgprValuC+78], v74, v[vgprValuC+78]   // finalSum = sum*alpha + C*beta
v_mul_lo_u32 v75, s[sgprBeta], v75                 // C = C*beta
_v_add_u32 v[vgprValuC+79], v75, v[vgprValuC+79]   // finalSum = sum*alpha + C*beta
_ds_store_b128 v7, v[76:79], offset:576            // storeRemap lw
v_mul_lo_u32 v80, s[sgprBeta], v80                 // C = C*beta
_v_add_u32 v[vgprValuC+84], v80, v[vgprValuC+84]   // finalSum = sum*alpha + C*beta
v_mul_lo_u32 v81, s[sgprBeta], v81                 // C = C*beta
_v_add_u32 v[vgprValuC+85], v81, v[vgprValuC+85]   // finalSum = sum*alpha + C*beta
v_mul_lo_u32 v82, s[sgprBeta], v82                 // C = C*beta
_v_add_u32 v[vgprValuC+86], v82, v[vgprValuC+86]   // finalSum = sum*alpha + C*beta
v_mul_lo_u32 v83, s[sgprBeta], v83                 // C = C*beta
_v_add_u32 v[vgprValuC+87], v83, v[vgprValuC+87]   // finalSum = sum*alpha + C*beta
_ds_store_b128 v7, v[84:87], offset:608            // storeRemap lw

/* Handle local read and global write */
s_waitcnt lgkmcnt(0)                               // wait for LDS write
s_barrier //wait all lds write finished

_ds_load_b128 v[12:15], v8, offset:0               // storeRemap lr
_ds_load_b128 v[16:19], v8, offset:1040            // storeRemap lr
_ds_load_b128 v[20:23], v8, offset:2080            // storeRemap lr
	;; [unrolled: 1-line block ×7, first 2 shown]

s_waitcnt lgkmcnt(7)                               // wait for LDS read
_v_add_u32 v11, v5, 0                              // coord1 += nColPerLoad
_v_add_u32 v10, v4, 0                              // coord0 += element index of load vector
_v_add_u32 v9, v6, 0                               // offset coord1 += nColPerLoad
v_cmp_lt_u32 s[52:53], v10, s[sgprSizeI]           // coord0 < size0
v_cmp_lt_u32 s[54:55], v11, s[sgprSizeJ]           // coord1 < size1
s_and_b64 s[54:55], s[52:53], s[54:55]             // in0 && in1
v_mul_lo_u32 v9, v9, s[sgprStrideD1J]              // coord1 element offset =  coord1 * StrideD
_v_add_lshl_u32 v9, v9, v10, 0x2                   // scale to BPE
v_cndmask_b32 v9, -1, v9, s[54:55]                 // clip if OOB. offset
_buffer_store_b128 v[12:15], v9, s[sgprSrdD:sgprSrdD+3], 0, offen, offset:0 // store D
s_waitcnt lgkmcnt(6)                               // wait for LDS read
_v_add_u32 v11, v5, 1                              // coord1 += nColPerLoad
_v_add_u32 v10, v4, 0                              // coord0 += element index of load vector
_v_add_u32 v9, v6, 1                               // offset coord1 += nColPerLoad
v_cmp_lt_u32 s[52:53], v10, s[sgprSizeI]           // coord0 < size0
v_cmp_lt_u32 s[54:55], v11, s[sgprSizeJ]           // coord1 < size1
s_and_b64 s[54:55], s[52:53], s[54:55]             // in0 && in1
v_mul_lo_u32 v9, v9, s[sgprStrideD1J]              // coord1 element offset =  coord1 * StrideD
_v_add_lshl_u32 v9, v9, v10, 0x2                   // scale to BPE
v_cndmask_b32 v9, -1, v9, s[54:55]                 // clip if OOB. offset
_buffer_store_b128 v[16:19], v9, s[sgprSrdD:sgprSrdD+3], 0, offen, offset:0 // store D
	;; [unrolled: 11-line block ×8, first 2 shown]

s_barrier //wait all lds read finished
s_nop 0                                            // 1 wait state required when next inst writes vgprs held by previous dwordx4 store inst
/* optSingleColVgpr=0 optSharedColVgpr=0 optSGPRUsage=BufferLoad_Edge_Mask optSrdIncForRow=1 */

/******************************************/
/* Global Write Alpha Beta Edge Batch #2 (d1,d0,vc1,vc0) = */
/*    (2,0,0,0:vw4); (2,1,0,0:vw4); (2,2,0,0:vw4); (2,3,0,0:vw4); (2,4,0,0:vw4); (2,5,0,0:vw4); (2,6,0,0:vw4); (2,7,0,0:vw4) */
/******************************************/

/* calc coords, apply mask, and issue loads (if necessary) */
/* (d1,vc1,d0,vc0)=(2,0,0,0) */
_v_add_co_u32 v1, vcc, v1, 32                      // coord1.1: coord1Vgpr += d1*sg1*VW + vc1
v_cmp_lt_u32 s[52:53], v0, s[sgprSizeI]            // coord0 < size0
v_cmp_lt_u32 s[56:57], v1, s[sgprSizeJ]            // coord1 < size1
s_and_b64 s[56:57], s[52:53], s[56:57]             // in0 && in1
_v_add_lshl_u32 v9, v2, v0, 0x2                    // scaleToBpe: accumulate d0 lower and *= bpe into Cin addr
v_cndmask_b32 v9, -1, v9, s[56:57]                 // LDC clip if OOB. offset
s_mul_i32 s52, s[sgprStrideC1J], 128               // scale StrideC *= numRows(32) * bpe
s_add_u32  s[sgprSrdC+0], s[sgprSrdC+0], s52       // incToNextRow: gra SRD += inc(lower)
s_addc_u32  s[sgprSrdC+1], s[sgprSrdC+1], 0        // incToNextRow: gra SRD += inc(upper)
_buffer_load_b128 v[12:15], v9, s[sgprSrdC:sgprSrdC+3], 0, offen offset:0 // load C for beta calc
_v_add_lshl_u32 v9, v3, v0, 0x2                    // scaleToBpe: accumulate d0 lower and *= bpe into Cin addr
v_cndmask_b32 v9, -1, v9, s[56:57]                 // LDD clip if OOB. offset
/* (d1,vc1,d0,vc0)=(2,0,1,0) */
_v_add_co_u32 v10, vcc, v0, 8                      // coord0.1: coord0 += d0*sg0*VW + vc0
v_cmp_lt_u32 s[52:53], v10, s[sgprSizeI]           // coord0 < size0
v_cmp_lt_u32 s[56:57], v1, s[sgprSizeJ]            // coord1 < size1
s_and_b64 s[56:57], s[52:53], s[56:57]             // in0 && in1
_v_add_lshl_u32 v20, v2, v10, 0x2                  // scaleToBpe: accumulate d0 lower and *= bpe into Cin addr
v_cndmask_b32 v20, -1, v20, s[56:57]               // LDC clip if OOB. offset
_buffer_load_b128 v[24:27], v20, s[sgprSrdC:sgprSrdC+3], 0, offen offset:0 // load C for beta calc
_v_add_lshl_u32 v20, v3, v10, 0x2                  // scaleToBpe: accumulate d0 lower and *= bpe into Cin addr
v_cndmask_b32 v20, -1, v20, s[56:57]               // LDD clip if OOB. offset
/* (d1,vc1,d0,vc0)=(2,0,2,0) */
_v_add_co_u32 v10, vcc, v0, 16                     // coord0.1: coord0 += d0*sg0*VW + vc0
v_cmp_lt_u32 s[52:53], v10, s[sgprSizeI]           // coord0 < size0
v_cmp_lt_u32 s[56:57], v1, s[sgprSizeJ]            // coord1 < size1
s_and_b64 s[56:57], s[52:53], s[56:57]             // in0 && in1
_v_add_lshl_u32 v21, v2, v10, 0x2                  // scaleToBpe: accumulate d0 lower and *= bpe into Cin addr
v_cndmask_b32 v21, -1, v21, s[56:57]               // LDC clip if OOB. offset
_buffer_load_b128 v[32:35], v21, s[sgprSrdC:sgprSrdC+3], 0, offen offset:0 // load C for beta calc
_v_add_lshl_u32 v21, v3, v10, 0x2                  // scaleToBpe: accumulate d0 lower and *= bpe into Cin addr
v_cndmask_b32 v21, -1, v21, s[56:57]               // LDD clip if OOB. offset
/* (d1,vc1,d0,vc0)=(2,0,3,0) */
_v_add_co_u32 v10, vcc, v0, 24                     // coord0.1: coord0 += d0*sg0*VW + vc0
v_cmp_lt_u32 s[52:53], v10, s[sgprSizeI]           // coord0 < size0
v_cmp_lt_u32 s[56:57], v1, s[sgprSizeJ]            // coord1 < size1
s_and_b64 s[56:57], s[52:53], s[56:57]             // in0 && in1
_v_add_lshl_u32 v22, v2, v10, 0x2                  // scaleToBpe: accumulate d0 lower and *= bpe into Cin addr
v_cndmask_b32 v22, -1, v22, s[56:57]               // LDC clip if OOB. offset
_buffer_load_b128 v[40:43], v22, s[sgprSrdC:sgprSrdC+3], 0, offen offset:0 // load C for beta calc
_v_add_lshl_u32 v22, v3, v10, 0x2                  // scaleToBpe: accumulate d0 lower and *= bpe into Cin addr
v_cndmask_b32 v22, -1, v22, s[56:57]               // LDD clip if OOB. offset
/* (d1,vc1,d0,vc0)=(2,0,4,0) */
s_mov_b32 s52, 128                                 // coordOffset0 d0=4 vc0=0
_v_add_co_u32 v10, vcc, v0, s52                    // coord0.2: coord0 += d0*sg0*VW + vc0
v_cmp_lt_u32 s[52:53], v10, s[sgprSizeI]           // coord0 < size0
v_cmp_lt_u32 s[56:57], v1, s[sgprSizeJ]            // coord1 < size1
s_and_b64 s[56:57], s[52:53], s[56:57]             // in0 && in1
_v_add_lshl_u32 v23, v2, v10, 0x2                  // scaleToBpe: accumulate d0 lower and *= bpe into Cin addr
v_cndmask_b32 v23, -1, v23, s[56:57]               // LDC clip if OOB. offset
_buffer_load_b128 v[56:59], v23, s[sgprSrdC:sgprSrdC+3], 0, offen offset:0 // load C for beta calc
_v_add_lshl_u32 v23, v3, v10, 0x2                  // scaleToBpe: accumulate d0 lower and *= bpe into Cin addr
v_cndmask_b32 v23, -1, v23, s[56:57]               // LDD clip if OOB. offset
/* (d1,vc1,d0,vc0)=(2,0,5,0) */
s_mov_b32 s52, 136                                 // coordOffset0 d0=5 vc0=0
_v_add_co_u32 v10, vcc, v0, s52                    // coord0.2: coord0 += d0*sg0*VW + vc0
	;; [unrolled: 11-line block ×4, first 2 shown]
v_cmp_lt_u32 s[52:53], v10, s[sgprSizeI]           // coord0 < size0
v_cmp_lt_u32 s[56:57], v1, s[sgprSizeJ]            // coord1 < size1
s_and_b64 s[56:57], s[52:53], s[56:57]             // in0 && in1
_v_add_lshl_u32 v49, v2, v10, 0x2                  // scaleToBpe: accumulate d0 lower and *= bpe into Cin addr
v_cndmask_b32 v49, -1, v49, s[56:57]               // LDC clip if OOB. offset
_buffer_load_b128 v[80:83], v49, s[sgprSrdC:sgprSrdC+3], 0, offen offset:0 // load C for beta calc
_v_add_lshl_u32 v49, v3, v10, 0x2                  // scaleToBpe: accumulate d0 lower and *= bpe into Cin addr
v_cndmask_b32 v49, -1, v49, s[56:57]               // LDD clip if OOB. offset
v_accvgpr_read_b32 v[vgprValuC+16], acc64 // copy acc to vreg[64]
v_accvgpr_read_b32 v[vgprValuC+17], acc65 // copy acc to vreg[65]
v_accvgpr_read_b32 v[vgprValuC+18], acc66 // copy acc to vreg[66]
v_accvgpr_read_b32 v[vgprValuC+19], acc67 // copy acc to vreg[67]
v_accvgpr_read_b32 v[vgprValuC+28], acc68 // copy acc to vreg[68]
v_accvgpr_read_b32 v[vgprValuC+29], acc69 // copy acc to vreg[69]
v_accvgpr_read_b32 v[vgprValuC+30], acc70 // copy acc to vreg[70]
v_accvgpr_read_b32 v[vgprValuC+31], acc71 // copy acc to vreg[71]
v_accvgpr_read_b32 v[vgprValuC+36], acc72 // copy acc to vreg[72]
v_accvgpr_read_b32 v[vgprValuC+37], acc73 // copy acc to vreg[73]
v_accvgpr_read_b32 v[vgprValuC+38], acc74 // copy acc to vreg[74]
v_accvgpr_read_b32 v[vgprValuC+39], acc75 // copy acc to vreg[75]
v_accvgpr_read_b32 v[vgprValuC+52], acc76 // copy acc to vreg[76]
v_accvgpr_read_b32 v[vgprValuC+53], acc77 // copy acc to vreg[77]
v_accvgpr_read_b32 v[vgprValuC+54], acc78 // copy acc to vreg[78]
v_accvgpr_read_b32 v[vgprValuC+55], acc79 // copy acc to vreg[79]
v_accvgpr_read_b32 v[vgprValuC+60], acc80 // copy acc to vreg[80]
v_accvgpr_read_b32 v[vgprValuC+61], acc81 // copy acc to vreg[81]
v_accvgpr_read_b32 v[vgprValuC+62], acc82 // copy acc to vreg[82]
v_accvgpr_read_b32 v[vgprValuC+63], acc83 // copy acc to vreg[83]
v_accvgpr_read_b32 v[vgprValuC+68], acc84 // copy acc to vreg[84]
v_accvgpr_read_b32 v[vgprValuC+69], acc85 // copy acc to vreg[85]
v_accvgpr_read_b32 v[vgprValuC+70], acc86 // copy acc to vreg[86]
v_accvgpr_read_b32 v[vgprValuC+71], acc87 // copy acc to vreg[87]
v_accvgpr_read_b32 v[vgprValuC+76], acc88 // copy acc to vreg[88]
v_accvgpr_read_b32 v[vgprValuC+77], acc89 // copy acc to vreg[89]
v_accvgpr_read_b32 v[vgprValuC+78], acc90 // copy acc to vreg[90]
v_accvgpr_read_b32 v[vgprValuC+79], acc91 // copy acc to vreg[91]
v_accvgpr_read_b32 v[vgprValuC+84], acc92 // copy acc to vreg[92]
v_accvgpr_read_b32 v[vgprValuC+85], acc93 // copy acc to vreg[93]
v_accvgpr_read_b32 v[vgprValuC+86], acc94 // copy acc to vreg[94]
v_accvgpr_read_b32 v[vgprValuC+87], acc95 // copy acc to vreg[95]
s_nop 1                                            // 2 wait states required before reading vgpr

/* rC *= alpha batchElements=[(2, 0, 0, 0), (2, 1, 0, 0), (2, 2, 0, 0), (2, 3, 0, 0), (2, 4, 0, 0), (2, 5, 0, 0), (2, 6, 0, 0), (2, 7, 0, 0)] */
v_mul_lo_u32 v[vgprValuC+16], s[sgprAlpha], v[vgprValuC+16] // *= alpha
v_mul_lo_u32 v[vgprValuC+17], s[sgprAlpha], v[vgprValuC+17] // *= alpha
	;; [unrolled: 1-line block ×32, first 2 shown]
s_waitcnt vmcnt(0)                                 // wait C

/* apply mask, calc new C and issue writes */

/* StoreRemap: shift coord1 address */
s_mul_i32 s52, s[sgprStrideD1J], 128               // scale StrideD *= numRows(32) * bpe
s_add_u32  s[sgprSrdD+0], s[sgprSrdD+0], s52       // incToNextRow: gra SRD += inc(lower)
s_addc_u32  s[sgprSrdD+1], s[sgprSrdD+1], 0        // incToNextRow: gra SRD += inc(upper)
v_mov_b32 v10, 32                                  // set shift rows
_v_add_u32 v5, v5, v10                             // shift storeRemap coord1
v_mul_lo_u32 v12, s[sgprBeta], v12                 // C = C*beta
_v_add_u32 v[vgprValuC+16], v12, v[vgprValuC+16]   // finalSum = sum*alpha + C*beta
v_mul_lo_u32 v13, s[sgprBeta], v13                 // C = C*beta
_v_add_u32 v[vgprValuC+17], v13, v[vgprValuC+17]   // finalSum = sum*alpha + C*beta
	;; [unrolled: 2-line block ×4, first 2 shown]
_ds_store_b128 v7, v[16:19], offset:0              // storeRemap lw
v_mul_lo_u32 v24, s[sgprBeta], v24                 // C = C*beta
_v_add_u32 v[vgprValuC+28], v24, v[vgprValuC+28]   // finalSum = sum*alpha + C*beta
v_mul_lo_u32 v25, s[sgprBeta], v25                 // C = C*beta
_v_add_u32 v[vgprValuC+29], v25, v[vgprValuC+29]   // finalSum = sum*alpha + C*beta
v_mul_lo_u32 v26, s[sgprBeta], v26                 // C = C*beta
_v_add_u32 v[vgprValuC+30], v26, v[vgprValuC+30]   // finalSum = sum*alpha + C*beta
v_mul_lo_u32 v27, s[sgprBeta], v27                 // C = C*beta
_v_add_u32 v[vgprValuC+31], v27, v[vgprValuC+31]   // finalSum = sum*alpha + C*beta
_ds_store_b128 v7, v[28:31], offset:32             // storeRemap lw
v_mul_lo_u32 v32, s[sgprBeta], v32                 // C = C*beta
_v_add_u32 v[vgprValuC+36], v32, v[vgprValuC+36]   // finalSum = sum*alpha + C*beta
v_mul_lo_u32 v33, s[sgprBeta], v33                 // C = C*beta
_v_add_u32 v[vgprValuC+37], v33, v[vgprValuC+37]   // finalSum = sum*alpha + C*beta
v_mul_lo_u32 v34, s[sgprBeta], v34                 // C = C*beta
_v_add_u32 v[vgprValuC+38], v34, v[vgprValuC+38]   // finalSum = sum*alpha + C*beta
v_mul_lo_u32 v35, s[sgprBeta], v35                 // C = C*beta
_v_add_u32 v[vgprValuC+39], v35, v[vgprValuC+39]   // finalSum = sum*alpha + C*beta
_ds_store_b128 v7, v[36:39], offset:64             // storeRemap lw
	;; [unrolled: 9-line block ×3, first 2 shown]
v_mul_lo_u32 v56, s[sgprBeta], v56                 // C = C*beta
_v_add_u32 v[vgprValuC+60], v56, v[vgprValuC+60]   // finalSum = sum*alpha + C*beta
v_mul_lo_u32 v57, s[sgprBeta], v57                 // C = C*beta
_v_add_u32 v[vgprValuC+61], v57, v[vgprValuC+61]   // finalSum = sum*alpha + C*beta
v_mul_lo_u32 v58, s[sgprBeta], v58                 // C = C*beta
_v_add_u32 v[vgprValuC+62], v58, v[vgprValuC+62]   // finalSum = sum*alpha + C*beta
v_mul_lo_u32 v59, s[sgprBeta], v59                 // C = C*beta
_v_add_u32 v[vgprValuC+63], v59, v[vgprValuC+63]   // finalSum = sum*alpha + C*beta
_ds_store_b128 v7, v[60:63], offset:512            // storeRemap lw
v_mul_lo_u32 v64, s[sgprBeta], v64                 // C = C*beta
_v_add_u32 v[vgprValuC+68], v64, v[vgprValuC+68]   // finalSum = sum*alpha + C*beta
v_mul_lo_u32 v65, s[sgprBeta], v65                 // C = C*beta
_v_add_u32 v[vgprValuC+69], v65, v[vgprValuC+69]   // finalSum = sum*alpha + C*beta
v_mul_lo_u32 v66, s[sgprBeta], v66                 // C = C*beta
_v_add_u32 v[vgprValuC+70], v66, v[vgprValuC+70]   // finalSum = sum*alpha + C*beta
v_mul_lo_u32 v67, s[sgprBeta], v67                 // C = C*beta
_v_add_u32 v[vgprValuC+71], v67, v[vgprValuC+71]   // finalSum = sum*alpha + C*beta
_ds_store_b128 v7, v[68:71], offset:544            // storeRemap lw
	;; [unrolled: 9-line block ×4, first 2 shown]

/* Handle local read and global write */
s_waitcnt lgkmcnt(0)                               // wait for LDS write
s_barrier //wait all lds write finished

_ds_load_b128 v[12:15], v8, offset:0               // storeRemap lr
_ds_load_b128 v[16:19], v8, offset:1040            // storeRemap lr
_ds_load_b128 v[20:23], v8, offset:2080            // storeRemap lr
_ds_load_b128 v[24:27], v8, offset:3120            // storeRemap lr
_ds_load_b128 v[28:31], v8, offset:4160            // storeRemap lr
_ds_load_b128 v[32:35], v8, offset:5200            // storeRemap lr
_ds_load_b128 v[36:39], v8, offset:6240            // storeRemap lr
_ds_load_b128 v[40:43], v8, offset:7280            // storeRemap lr

s_waitcnt lgkmcnt(7)                               // wait for LDS read
_v_add_u32 v11, v5, 0                              // coord1 += nColPerLoad
_v_add_u32 v10, v4, 0                              // coord0 += element index of load vector
_v_add_u32 v9, v6, 0                               // offset coord1 += nColPerLoad
v_cmp_lt_u32 s[52:53], v10, s[sgprSizeI]           // coord0 < size0
v_cmp_lt_u32 s[54:55], v11, s[sgprSizeJ]           // coord1 < size1
s_and_b64 s[54:55], s[52:53], s[54:55]             // in0 && in1
v_mul_lo_u32 v9, v9, s[sgprStrideD1J]              // coord1 element offset =  coord1 * StrideD
_v_add_lshl_u32 v9, v9, v10, 0x2                   // scale to BPE
v_cndmask_b32 v9, -1, v9, s[54:55]                 // clip if OOB. offset
_buffer_store_b128 v[12:15], v9, s[sgprSrdD:sgprSrdD+3], 0, offen, offset:0 // store D
s_waitcnt lgkmcnt(6)                               // wait for LDS read
_v_add_u32 v11, v5, 1                              // coord1 += nColPerLoad
_v_add_u32 v10, v4, 0                              // coord0 += element index of load vector
_v_add_u32 v9, v6, 1                               // offset coord1 += nColPerLoad
v_cmp_lt_u32 s[52:53], v10, s[sgprSizeI]           // coord0 < size0
v_cmp_lt_u32 s[54:55], v11, s[sgprSizeJ]           // coord1 < size1
s_and_b64 s[54:55], s[52:53], s[54:55]             // in0 && in1
v_mul_lo_u32 v9, v9, s[sgprStrideD1J]              // coord1 element offset =  coord1 * StrideD
_v_add_lshl_u32 v9, v9, v10, 0x2                   // scale to BPE
v_cndmask_b32 v9, -1, v9, s[54:55]                 // clip if OOB. offset
_buffer_store_b128 v[16:19], v9, s[sgprSrdD:sgprSrdD+3], 0, offen, offset:0 // store D
	;; [unrolled: 11-line block ×8, first 2 shown]

s_barrier //wait all lds read finished
s_nop 0                                            // 1 wait state required when next inst writes vgprs held by previous dwordx4 store inst
/* optSingleColVgpr=0 optSharedColVgpr=0 optSGPRUsage=BufferLoad_Edge_Mask optSrdIncForRow=1 */

/******************************************/
/* Global Write Alpha Beta Edge Batch #3 (d1,d0,vc1,vc0) = */
/*    (3,0,0,0:vw4); (3,1,0,0:vw4); (3,2,0,0:vw4); (3,3,0,0:vw4); (3,4,0,0:vw4); (3,5,0,0:vw4); (3,6,0,0:vw4); (3,7,0,0:vw4) */
/******************************************/

/* calc coords, apply mask, and issue loads (if necessary) */
/* (d1,vc1,d0,vc0)=(3,0,0,0) */
_v_add_co_u32 v1, vcc, v1, 32                      // coord1.1: coord1Vgpr += d1*sg1*VW + vc1
v_cmp_lt_u32 s[52:53], v0, s[sgprSizeI]            // coord0 < size0
v_cmp_lt_u32 s[56:57], v1, s[sgprSizeJ]            // coord1 < size1
s_and_b64 s[56:57], s[52:53], s[56:57]             // in0 && in1
_v_add_lshl_u32 v9, v2, v0, 0x2                    // scaleToBpe: accumulate d0 lower and *= bpe into Cin addr
v_cndmask_b32 v9, -1, v9, s[56:57]                 // LDC clip if OOB. offset
s_mul_i32 s52, s[sgprStrideC1J], 128               // scale StrideC *= numRows(32) * bpe
s_add_u32  s[sgprSrdC+0], s[sgprSrdC+0], s52       // incToNextRow: gra SRD += inc(lower)
s_addc_u32  s[sgprSrdC+1], s[sgprSrdC+1], 0        // incToNextRow: gra SRD += inc(upper)
_buffer_load_b128 v[12:15], v9, s[sgprSrdC:sgprSrdC+3], 0, offen offset:0 // load C for beta calc
_v_add_lshl_u32 v9, v3, v0, 0x2                    // scaleToBpe: accumulate d0 lower and *= bpe into Cin addr
v_cndmask_b32 v9, -1, v9, s[56:57]                 // LDD clip if OOB. offset
/* (d1,vc1,d0,vc0)=(3,0,1,0) */
_v_add_co_u32 v10, vcc, v0, 8                      // coord0.1: coord0 += d0*sg0*VW + vc0
v_cmp_lt_u32 s[52:53], v10, s[sgprSizeI]           // coord0 < size0
v_cmp_lt_u32 s[56:57], v1, s[sgprSizeJ]            // coord1 < size1
s_and_b64 s[56:57], s[52:53], s[56:57]             // in0 && in1
_v_add_lshl_u32 v20, v2, v10, 0x2                  // scaleToBpe: accumulate d0 lower and *= bpe into Cin addr
v_cndmask_b32 v20, -1, v20, s[56:57]               // LDC clip if OOB. offset
_buffer_load_b128 v[24:27], v20, s[sgprSrdC:sgprSrdC+3], 0, offen offset:0 // load C for beta calc
_v_add_lshl_u32 v20, v3, v10, 0x2                  // scaleToBpe: accumulate d0 lower and *= bpe into Cin addr
v_cndmask_b32 v20, -1, v20, s[56:57]               // LDD clip if OOB. offset
/* (d1,vc1,d0,vc0)=(3,0,2,0) */
_v_add_co_u32 v10, vcc, v0, 16                     // coord0.1: coord0 += d0*sg0*VW + vc0
v_cmp_lt_u32 s[52:53], v10, s[sgprSizeI]           // coord0 < size0
v_cmp_lt_u32 s[56:57], v1, s[sgprSizeJ]            // coord1 < size1
s_and_b64 s[56:57], s[52:53], s[56:57]             // in0 && in1
_v_add_lshl_u32 v21, v2, v10, 0x2                  // scaleToBpe: accumulate d0 lower and *= bpe into Cin addr
v_cndmask_b32 v21, -1, v21, s[56:57]               // LDC clip if OOB. offset
_buffer_load_b128 v[32:35], v21, s[sgprSrdC:sgprSrdC+3], 0, offen offset:0 // load C for beta calc
_v_add_lshl_u32 v21, v3, v10, 0x2                  // scaleToBpe: accumulate d0 lower and *= bpe into Cin addr
v_cndmask_b32 v21, -1, v21, s[56:57]               // LDD clip if OOB. offset
/* (d1,vc1,d0,vc0)=(3,0,3,0) */
_v_add_co_u32 v10, vcc, v0, 24                     // coord0.1: coord0 += d0*sg0*VW + vc0
v_cmp_lt_u32 s[52:53], v10, s[sgprSizeI]           // coord0 < size0
v_cmp_lt_u32 s[56:57], v1, s[sgprSizeJ]            // coord1 < size1
s_and_b64 s[56:57], s[52:53], s[56:57]             // in0 && in1
_v_add_lshl_u32 v22, v2, v10, 0x2                  // scaleToBpe: accumulate d0 lower and *= bpe into Cin addr
v_cndmask_b32 v22, -1, v22, s[56:57]               // LDC clip if OOB. offset
_buffer_load_b128 v[40:43], v22, s[sgprSrdC:sgprSrdC+3], 0, offen offset:0 // load C for beta calc
_v_add_lshl_u32 v22, v3, v10, 0x2                  // scaleToBpe: accumulate d0 lower and *= bpe into Cin addr
v_cndmask_b32 v22, -1, v22, s[56:57]               // LDD clip if OOB. offset
/* (d1,vc1,d0,vc0)=(3,0,4,0) */
s_mov_b32 s52, 128                                 // coordOffset0 d0=4 vc0=0
_v_add_co_u32 v10, vcc, v0, s52                    // coord0.2: coord0 += d0*sg0*VW + vc0
v_cmp_lt_u32 s[52:53], v10, s[sgprSizeI]           // coord0 < size0
v_cmp_lt_u32 s[56:57], v1, s[sgprSizeJ]            // coord1 < size1
s_and_b64 s[56:57], s[52:53], s[56:57]             // in0 && in1
_v_add_lshl_u32 v23, v2, v10, 0x2                  // scaleToBpe: accumulate d0 lower and *= bpe into Cin addr
v_cndmask_b32 v23, -1, v23, s[56:57]               // LDC clip if OOB. offset
_buffer_load_b128 v[56:59], v23, s[sgprSrdC:sgprSrdC+3], 0, offen offset:0 // load C for beta calc
_v_add_lshl_u32 v23, v3, v10, 0x2                  // scaleToBpe: accumulate d0 lower and *= bpe into Cin addr
v_cndmask_b32 v23, -1, v23, s[56:57]               // LDD clip if OOB. offset
/* (d1,vc1,d0,vc0)=(3,0,5,0) */
s_mov_b32 s52, 136                                 // coordOffset0 d0=5 vc0=0
_v_add_co_u32 v10, vcc, v0, s52                    // coord0.2: coord0 += d0*sg0*VW + vc0
v_cmp_lt_u32 s[52:53], v10, s[sgprSizeI]           // coord0 < size0
v_cmp_lt_u32 s[56:57], v1, s[sgprSizeJ]            // coord1 < size1
s_and_b64 s[56:57], s[52:53], s[56:57]             // in0 && in1
_v_add_lshl_u32 v44, v2, v10, 0x2                  // scaleToBpe: accumulate d0 lower and *= bpe into Cin addr
v_cndmask_b32 v44, -1, v44, s[56:57]               // LDC clip if OOB. offset
_buffer_load_b128 v[64:67], v44, s[sgprSrdC:sgprSrdC+3], 0, offen offset:0 // load C for beta calc
_v_add_lshl_u32 v44, v3, v10, 0x2                  // scaleToBpe: accumulate d0 lower and *= bpe into Cin addr
v_cndmask_b32 v44, -1, v44, s[56:57]               // LDD clip if OOB. offset
/* (d1,vc1,d0,vc0)=(3,0,6,0) */
s_mov_b32 s52, 144                                 // coordOffset0 d0=6 vc0=0
_v_add_co_u32 v10, vcc, v0, s52                    // coord0.2: coord0 += d0*sg0*VW + vc0
v_cmp_lt_u32 s[52:53], v10, s[sgprSizeI]           // coord0 < size0
v_cmp_lt_u32 s[56:57], v1, s[sgprSizeJ]            // coord1 < size1
s_and_b64 s[56:57], s[52:53], s[56:57]             // in0 && in1
_v_add_lshl_u32 v45, v2, v10, 0x2                  // scaleToBpe: accumulate d0 lower and *= bpe into Cin addr
v_cndmask_b32 v45, -1, v45, s[56:57]               // LDC clip if OOB. offset
_buffer_load_b128 v[72:75], v45, s[sgprSrdC:sgprSrdC+3], 0, offen offset:0 // load C for beta calc
_v_add_lshl_u32 v45, v3, v10, 0x2                  // scaleToBpe: accumulate d0 lower and *= bpe into Cin addr
v_cndmask_b32 v45, -1, v45, s[56:57]               // LDD clip if OOB. offset
/* (d1,vc1,d0,vc0)=(3,0,7,0) */
s_mov_b32 s52, 152                                 // coordOffset0 d0=7 vc0=0
_v_add_co_u32 v10, vcc, v0, s52                    // coord0.2: coord0 += d0*sg0*VW + vc0
v_cmp_lt_u32 s[52:53], v10, s[sgprSizeI]           // coord0 < size0
v_cmp_lt_u32 s[56:57], v1, s[sgprSizeJ]            // coord1 < size1
s_and_b64 s[56:57], s[52:53], s[56:57]             // in0 && in1
_v_add_lshl_u32 v49, v2, v10, 0x2                  // scaleToBpe: accumulate d0 lower and *= bpe into Cin addr
v_cndmask_b32 v49, -1, v49, s[56:57]               // LDC clip if OOB. offset
_buffer_load_b128 v[80:83], v49, s[sgprSrdC:sgprSrdC+3], 0, offen offset:0 // load C for beta calc
_v_add_lshl_u32 v49, v3, v10, 0x2                  // scaleToBpe: accumulate d0 lower and *= bpe into Cin addr
v_cndmask_b32 v49, -1, v49, s[56:57]               // LDD clip if OOB. offset
v_accvgpr_read_b32 v[vgprValuC+16], acc96 // copy acc to vreg[96]
v_accvgpr_read_b32 v[vgprValuC+17], acc97 // copy acc to vreg[97]
v_accvgpr_read_b32 v[vgprValuC+18], acc98 // copy acc to vreg[98]
v_accvgpr_read_b32 v[vgprValuC+19], acc99 // copy acc to vreg[99]
v_accvgpr_read_b32 v[vgprValuC+28], acc100 // copy acc to vreg[100]
v_accvgpr_read_b32 v[vgprValuC+29], acc101 // copy acc to vreg[101]
v_accvgpr_read_b32 v[vgprValuC+30], acc102 // copy acc to vreg[102]
v_accvgpr_read_b32 v[vgprValuC+31], acc103 // copy acc to vreg[103]
v_accvgpr_read_b32 v[vgprValuC+36], acc104 // copy acc to vreg[104]
v_accvgpr_read_b32 v[vgprValuC+37], acc105 // copy acc to vreg[105]
v_accvgpr_read_b32 v[vgprValuC+38], acc106 // copy acc to vreg[106]
v_accvgpr_read_b32 v[vgprValuC+39], acc107 // copy acc to vreg[107]
v_accvgpr_read_b32 v[vgprValuC+52], acc108 // copy acc to vreg[108]
v_accvgpr_read_b32 v[vgprValuC+53], acc109 // copy acc to vreg[109]
v_accvgpr_read_b32 v[vgprValuC+54], acc110 // copy acc to vreg[110]
v_accvgpr_read_b32 v[vgprValuC+55], acc111 // copy acc to vreg[111]
v_accvgpr_read_b32 v[vgprValuC+60], acc112 // copy acc to vreg[112]
v_accvgpr_read_b32 v[vgprValuC+61], acc113 // copy acc to vreg[113]
v_accvgpr_read_b32 v[vgprValuC+62], acc114 // copy acc to vreg[114]
v_accvgpr_read_b32 v[vgprValuC+63], acc115 // copy acc to vreg[115]
v_accvgpr_read_b32 v[vgprValuC+68], acc116 // copy acc to vreg[116]
v_accvgpr_read_b32 v[vgprValuC+69], acc117 // copy acc to vreg[117]
v_accvgpr_read_b32 v[vgprValuC+70], acc118 // copy acc to vreg[118]
v_accvgpr_read_b32 v[vgprValuC+71], acc119 // copy acc to vreg[119]
v_accvgpr_read_b32 v[vgprValuC+76], acc120 // copy acc to vreg[120]
v_accvgpr_read_b32 v[vgprValuC+77], acc121 // copy acc to vreg[121]
v_accvgpr_read_b32 v[vgprValuC+78], acc122 // copy acc to vreg[122]
v_accvgpr_read_b32 v[vgprValuC+79], acc123 // copy acc to vreg[123]
v_accvgpr_read_b32 v[vgprValuC+84], acc124 // copy acc to vreg[124]
v_accvgpr_read_b32 v[vgprValuC+85], acc125 // copy acc to vreg[125]
v_accvgpr_read_b32 v[vgprValuC+86], acc126 // copy acc to vreg[126]
v_accvgpr_read_b32 v[vgprValuC+87], acc127 // copy acc to vreg[127]
s_nop 1                                            // 2 wait states required before reading vgpr

/* rC *= alpha batchElements=[(3, 0, 0, 0), (3, 1, 0, 0), (3, 2, 0, 0), (3, 3, 0, 0), (3, 4, 0, 0), (3, 5, 0, 0), (3, 6, 0, 0), (3, 7, 0, 0)] */
v_mul_lo_u32 v[vgprValuC+16], s[sgprAlpha], v[vgprValuC+16] // *= alpha
v_mul_lo_u32 v[vgprValuC+17], s[sgprAlpha], v[vgprValuC+17] // *= alpha
	;; [unrolled: 1-line block ×32, first 2 shown]
s_waitcnt vmcnt(0)                                 // wait C

/* apply mask, calc new C and issue writes */

/* StoreRemap: shift coord1 address */
s_mul_i32 s52, s[sgprStrideD1J], 128               // scale StrideD *= numRows(32) * bpe
s_add_u32  s[sgprSrdD+0], s[sgprSrdD+0], s52       // incToNextRow: gra SRD += inc(lower)
s_addc_u32  s[sgprSrdD+1], s[sgprSrdD+1], 0        // incToNextRow: gra SRD += inc(upper)
v_mov_b32 v10, 32                                  // set shift rows
_v_add_u32 v5, v5, v10                             // shift storeRemap coord1
v_mul_lo_u32 v12, s[sgprBeta], v12                 // C = C*beta
_v_add_u32 v[vgprValuC+16], v12, v[vgprValuC+16]   // finalSum = sum*alpha + C*beta
v_mul_lo_u32 v13, s[sgprBeta], v13                 // C = C*beta
_v_add_u32 v[vgprValuC+17], v13, v[vgprValuC+17]   // finalSum = sum*alpha + C*beta
	;; [unrolled: 2-line block ×4, first 2 shown]
_ds_store_b128 v7, v[16:19], offset:0              // storeRemap lw
v_mul_lo_u32 v24, s[sgprBeta], v24                 // C = C*beta
_v_add_u32 v[vgprValuC+28], v24, v[vgprValuC+28]   // finalSum = sum*alpha + C*beta
v_mul_lo_u32 v25, s[sgprBeta], v25                 // C = C*beta
_v_add_u32 v[vgprValuC+29], v25, v[vgprValuC+29]   // finalSum = sum*alpha + C*beta
v_mul_lo_u32 v26, s[sgprBeta], v26                 // C = C*beta
_v_add_u32 v[vgprValuC+30], v26, v[vgprValuC+30]   // finalSum = sum*alpha + C*beta
v_mul_lo_u32 v27, s[sgprBeta], v27                 // C = C*beta
_v_add_u32 v[vgprValuC+31], v27, v[vgprValuC+31]   // finalSum = sum*alpha + C*beta
_ds_store_b128 v7, v[28:31], offset:32             // storeRemap lw
v_mul_lo_u32 v32, s[sgprBeta], v32                 // C = C*beta
_v_add_u32 v[vgprValuC+36], v32, v[vgprValuC+36]   // finalSum = sum*alpha + C*beta
v_mul_lo_u32 v33, s[sgprBeta], v33                 // C = C*beta
_v_add_u32 v[vgprValuC+37], v33, v[vgprValuC+37]   // finalSum = sum*alpha + C*beta
v_mul_lo_u32 v34, s[sgprBeta], v34                 // C = C*beta
_v_add_u32 v[vgprValuC+38], v34, v[vgprValuC+38]   // finalSum = sum*alpha + C*beta
v_mul_lo_u32 v35, s[sgprBeta], v35                 // C = C*beta
_v_add_u32 v[vgprValuC+39], v35, v[vgprValuC+39]   // finalSum = sum*alpha + C*beta
_ds_store_b128 v7, v[36:39], offset:64             // storeRemap lw
	;; [unrolled: 9-line block ×3, first 2 shown]
v_mul_lo_u32 v56, s[sgprBeta], v56                 // C = C*beta
_v_add_u32 v[vgprValuC+60], v56, v[vgprValuC+60]   // finalSum = sum*alpha + C*beta
v_mul_lo_u32 v57, s[sgprBeta], v57                 // C = C*beta
_v_add_u32 v[vgprValuC+61], v57, v[vgprValuC+61]   // finalSum = sum*alpha + C*beta
v_mul_lo_u32 v58, s[sgprBeta], v58                 // C = C*beta
_v_add_u32 v[vgprValuC+62], v58, v[vgprValuC+62]   // finalSum = sum*alpha + C*beta
v_mul_lo_u32 v59, s[sgprBeta], v59                 // C = C*beta
_v_add_u32 v[vgprValuC+63], v59, v[vgprValuC+63]   // finalSum = sum*alpha + C*beta
_ds_store_b128 v7, v[60:63], offset:512            // storeRemap lw
v_mul_lo_u32 v64, s[sgprBeta], v64                 // C = C*beta
_v_add_u32 v[vgprValuC+68], v64, v[vgprValuC+68]   // finalSum = sum*alpha + C*beta
v_mul_lo_u32 v65, s[sgprBeta], v65                 // C = C*beta
_v_add_u32 v[vgprValuC+69], v65, v[vgprValuC+69]   // finalSum = sum*alpha + C*beta
v_mul_lo_u32 v66, s[sgprBeta], v66                 // C = C*beta
_v_add_u32 v[vgprValuC+70], v66, v[vgprValuC+70]   // finalSum = sum*alpha + C*beta
v_mul_lo_u32 v67, s[sgprBeta], v67                 // C = C*beta
_v_add_u32 v[vgprValuC+71], v67, v[vgprValuC+71]   // finalSum = sum*alpha + C*beta
_ds_store_b128 v7, v[68:71], offset:544            // storeRemap lw
	;; [unrolled: 9-line block ×4, first 2 shown]

/* Handle local read and global write */
s_waitcnt lgkmcnt(0)                               // wait for LDS write
s_barrier //wait all lds write finished

_ds_load_b128 v[12:15], v8, offset:0               // storeRemap lr
_ds_load_b128 v[16:19], v8, offset:1040            // storeRemap lr
_ds_load_b128 v[20:23], v8, offset:2080            // storeRemap lr
	;; [unrolled: 1-line block ×7, first 2 shown]

s_waitcnt lgkmcnt(7)                               // wait for LDS read
_v_add_u32 v11, v5, 0                              // coord1 += nColPerLoad
_v_add_u32 v10, v4, 0                              // coord0 += element index of load vector
_v_add_u32 v9, v6, 0                               // offset coord1 += nColPerLoad
v_cmp_lt_u32 s[52:53], v10, s[sgprSizeI]           // coord0 < size0
v_cmp_lt_u32 s[54:55], v11, s[sgprSizeJ]           // coord1 < size1
s_and_b64 s[54:55], s[52:53], s[54:55]             // in0 && in1
v_mul_lo_u32 v9, v9, s[sgprStrideD1J]              // coord1 element offset =  coord1 * StrideD
_v_add_lshl_u32 v9, v9, v10, 0x2                   // scale to BPE
v_cndmask_b32 v9, -1, v9, s[54:55]                 // clip if OOB. offset
_buffer_store_b128 v[12:15], v9, s[sgprSrdD:sgprSrdD+3], 0, offen, offset:0 // store D
s_waitcnt lgkmcnt(6)                               // wait for LDS read
_v_add_u32 v11, v5, 1                              // coord1 += nColPerLoad
_v_add_u32 v10, v4, 0                              // coord0 += element index of load vector
_v_add_u32 v9, v6, 1                               // offset coord1 += nColPerLoad
v_cmp_lt_u32 s[52:53], v10, s[sgprSizeI]           // coord0 < size0
v_cmp_lt_u32 s[54:55], v11, s[sgprSizeJ]           // coord1 < size1
s_and_b64 s[54:55], s[52:53], s[54:55]             // in0 && in1
v_mul_lo_u32 v9, v9, s[sgprStrideD1J]              // coord1 element offset =  coord1 * StrideD
_v_add_lshl_u32 v9, v9, v10, 0x2                   // scale to BPE
v_cndmask_b32 v9, -1, v9, s[54:55]                 // clip if OOB. offset
_buffer_store_b128 v[16:19], v9, s[sgprSrdD:sgprSrdD+3], 0, offen, offset:0 // store D
	;; [unrolled: 11-line block ×8, first 2 shown]

s_barrier //wait all lds read finished
s_nop 0                                            // 1 wait state required when next inst writes vgprs held by previous dwordx4 store inst
/* optSingleColVgpr=0 optSharedColVgpr=0 optSGPRUsage=BufferLoad_Edge_Mask optSrdIncForRow=1 */

/******************************************/
/* Global Write Alpha Beta Edge Batch #4 (d1,d0,vc1,vc0) = */
/*    (4,0,0,0:vw4); (4,1,0,0:vw4); (4,2,0,0:vw4); (4,3,0,0:vw4); (4,4,0,0:vw4); (4,5,0,0:vw4); (4,6,0,0:vw4); (4,7,0,0:vw4) */
/******************************************/

/* calc coords, apply mask, and issue loads (if necessary) */
/* (d1,vc1,d0,vc0)=(4,0,0,0) */
_v_add_co_u32 v1, vcc, v1, 32                      // coord1.1: coord1Vgpr += d1*sg1*VW + vc1
v_cmp_lt_u32 s[52:53], v0, s[sgprSizeI]            // coord0 < size0
v_cmp_lt_u32 s[56:57], v1, s[sgprSizeJ]            // coord1 < size1
s_and_b64 s[56:57], s[52:53], s[56:57]             // in0 && in1
_v_add_lshl_u32 v9, v2, v0, 0x2                    // scaleToBpe: accumulate d0 lower and *= bpe into Cin addr
v_cndmask_b32 v9, -1, v9, s[56:57]                 // LDC clip if OOB. offset
s_mul_i32 s52, s[sgprStrideC1J], 128               // scale StrideC *= numRows(32) * bpe
s_add_u32  s[sgprSrdC+0], s[sgprSrdC+0], s52       // incToNextRow: gra SRD += inc(lower)
s_addc_u32  s[sgprSrdC+1], s[sgprSrdC+1], 0        // incToNextRow: gra SRD += inc(upper)
_buffer_load_b128 v[12:15], v9, s[sgprSrdC:sgprSrdC+3], 0, offen offset:0 // load C for beta calc
_v_add_lshl_u32 v9, v3, v0, 0x2                    // scaleToBpe: accumulate d0 lower and *= bpe into Cin addr
v_cndmask_b32 v9, -1, v9, s[56:57]                 // LDD clip if OOB. offset
/* (d1,vc1,d0,vc0)=(4,0,1,0) */
_v_add_co_u32 v10, vcc, v0, 8                      // coord0.1: coord0 += d0*sg0*VW + vc0
v_cmp_lt_u32 s[52:53], v10, s[sgprSizeI]           // coord0 < size0
v_cmp_lt_u32 s[56:57], v1, s[sgprSizeJ]            // coord1 < size1
s_and_b64 s[56:57], s[52:53], s[56:57]             // in0 && in1
_v_add_lshl_u32 v20, v2, v10, 0x2                  // scaleToBpe: accumulate d0 lower and *= bpe into Cin addr
v_cndmask_b32 v20, -1, v20, s[56:57]               // LDC clip if OOB. offset
_buffer_load_b128 v[24:27], v20, s[sgprSrdC:sgprSrdC+3], 0, offen offset:0 // load C for beta calc
_v_add_lshl_u32 v20, v3, v10, 0x2                  // scaleToBpe: accumulate d0 lower and *= bpe into Cin addr
v_cndmask_b32 v20, -1, v20, s[56:57]               // LDD clip if OOB. offset
/* (d1,vc1,d0,vc0)=(4,0,2,0) */
_v_add_co_u32 v10, vcc, v0, 16                     // coord0.1: coord0 += d0*sg0*VW + vc0
v_cmp_lt_u32 s[52:53], v10, s[sgprSizeI]           // coord0 < size0
v_cmp_lt_u32 s[56:57], v1, s[sgprSizeJ]            // coord1 < size1
s_and_b64 s[56:57], s[52:53], s[56:57]             // in0 && in1
_v_add_lshl_u32 v21, v2, v10, 0x2                  // scaleToBpe: accumulate d0 lower and *= bpe into Cin addr
v_cndmask_b32 v21, -1, v21, s[56:57]               // LDC clip if OOB. offset
_buffer_load_b128 v[32:35], v21, s[sgprSrdC:sgprSrdC+3], 0, offen offset:0 // load C for beta calc
_v_add_lshl_u32 v21, v3, v10, 0x2                  // scaleToBpe: accumulate d0 lower and *= bpe into Cin addr
v_cndmask_b32 v21, -1, v21, s[56:57]               // LDD clip if OOB. offset
/* (d1,vc1,d0,vc0)=(4,0,3,0) */
_v_add_co_u32 v10, vcc, v0, 24                     // coord0.1: coord0 += d0*sg0*VW + vc0
v_cmp_lt_u32 s[52:53], v10, s[sgprSizeI]           // coord0 < size0
v_cmp_lt_u32 s[56:57], v1, s[sgprSizeJ]            // coord1 < size1
s_and_b64 s[56:57], s[52:53], s[56:57]             // in0 && in1
_v_add_lshl_u32 v22, v2, v10, 0x2                  // scaleToBpe: accumulate d0 lower and *= bpe into Cin addr
v_cndmask_b32 v22, -1, v22, s[56:57]               // LDC clip if OOB. offset
_buffer_load_b128 v[40:43], v22, s[sgprSrdC:sgprSrdC+3], 0, offen offset:0 // load C for beta calc
_v_add_lshl_u32 v22, v3, v10, 0x2                  // scaleToBpe: accumulate d0 lower and *= bpe into Cin addr
v_cndmask_b32 v22, -1, v22, s[56:57]               // LDD clip if OOB. offset
/* (d1,vc1,d0,vc0)=(4,0,4,0) */
s_mov_b32 s52, 128                                 // coordOffset0 d0=4 vc0=0
_v_add_co_u32 v10, vcc, v0, s52                    // coord0.2: coord0 += d0*sg0*VW + vc0
v_cmp_lt_u32 s[52:53], v10, s[sgprSizeI]           // coord0 < size0
v_cmp_lt_u32 s[56:57], v1, s[sgprSizeJ]            // coord1 < size1
s_and_b64 s[56:57], s[52:53], s[56:57]             // in0 && in1
_v_add_lshl_u32 v23, v2, v10, 0x2                  // scaleToBpe: accumulate d0 lower and *= bpe into Cin addr
v_cndmask_b32 v23, -1, v23, s[56:57]               // LDC clip if OOB. offset
_buffer_load_b128 v[56:59], v23, s[sgprSrdC:sgprSrdC+3], 0, offen offset:0 // load C for beta calc
_v_add_lshl_u32 v23, v3, v10, 0x2                  // scaleToBpe: accumulate d0 lower and *= bpe into Cin addr
v_cndmask_b32 v23, -1, v23, s[56:57]               // LDD clip if OOB. offset
/* (d1,vc1,d0,vc0)=(4,0,5,0) */
s_mov_b32 s52, 136                                 // coordOffset0 d0=5 vc0=0
_v_add_co_u32 v10, vcc, v0, s52                    // coord0.2: coord0 += d0*sg0*VW + vc0
	;; [unrolled: 11-line block ×4, first 2 shown]
v_cmp_lt_u32 s[52:53], v10, s[sgprSizeI]           // coord0 < size0
v_cmp_lt_u32 s[56:57], v1, s[sgprSizeJ]            // coord1 < size1
s_and_b64 s[56:57], s[52:53], s[56:57]             // in0 && in1
_v_add_lshl_u32 v49, v2, v10, 0x2                  // scaleToBpe: accumulate d0 lower and *= bpe into Cin addr
v_cndmask_b32 v49, -1, v49, s[56:57]               // LDC clip if OOB. offset
_buffer_load_b128 v[80:83], v49, s[sgprSrdC:sgprSrdC+3], 0, offen offset:0 // load C for beta calc
_v_add_lshl_u32 v49, v3, v10, 0x2                  // scaleToBpe: accumulate d0 lower and *= bpe into Cin addr
v_cndmask_b32 v49, -1, v49, s[56:57]               // LDD clip if OOB. offset
v_accvgpr_read_b32 v[vgprValuC+16], acc128 // copy acc to vreg[128]
v_accvgpr_read_b32 v[vgprValuC+17], acc129 // copy acc to vreg[129]
v_accvgpr_read_b32 v[vgprValuC+18], acc130 // copy acc to vreg[130]
v_accvgpr_read_b32 v[vgprValuC+19], acc131 // copy acc to vreg[131]
v_accvgpr_read_b32 v[vgprValuC+28], acc132 // copy acc to vreg[132]
v_accvgpr_read_b32 v[vgprValuC+29], acc133 // copy acc to vreg[133]
v_accvgpr_read_b32 v[vgprValuC+30], acc134 // copy acc to vreg[134]
v_accvgpr_read_b32 v[vgprValuC+31], acc135 // copy acc to vreg[135]
v_accvgpr_read_b32 v[vgprValuC+36], acc136 // copy acc to vreg[136]
v_accvgpr_read_b32 v[vgprValuC+37], acc137 // copy acc to vreg[137]
v_accvgpr_read_b32 v[vgprValuC+38], acc138 // copy acc to vreg[138]
v_accvgpr_read_b32 v[vgprValuC+39], acc139 // copy acc to vreg[139]
v_accvgpr_read_b32 v[vgprValuC+52], acc140 // copy acc to vreg[140]
v_accvgpr_read_b32 v[vgprValuC+53], acc141 // copy acc to vreg[141]
v_accvgpr_read_b32 v[vgprValuC+54], acc142 // copy acc to vreg[142]
v_accvgpr_read_b32 v[vgprValuC+55], acc143 // copy acc to vreg[143]
v_accvgpr_read_b32 v[vgprValuC+60], acc144 // copy acc to vreg[144]
v_accvgpr_read_b32 v[vgprValuC+61], acc145 // copy acc to vreg[145]
v_accvgpr_read_b32 v[vgprValuC+62], acc146 // copy acc to vreg[146]
v_accvgpr_read_b32 v[vgprValuC+63], acc147 // copy acc to vreg[147]
v_accvgpr_read_b32 v[vgprValuC+68], acc148 // copy acc to vreg[148]
v_accvgpr_read_b32 v[vgprValuC+69], acc149 // copy acc to vreg[149]
v_accvgpr_read_b32 v[vgprValuC+70], acc150 // copy acc to vreg[150]
v_accvgpr_read_b32 v[vgprValuC+71], acc151 // copy acc to vreg[151]
v_accvgpr_read_b32 v[vgprValuC+76], acc152 // copy acc to vreg[152]
v_accvgpr_read_b32 v[vgprValuC+77], acc153 // copy acc to vreg[153]
v_accvgpr_read_b32 v[vgprValuC+78], acc154 // copy acc to vreg[154]
v_accvgpr_read_b32 v[vgprValuC+79], acc155 // copy acc to vreg[155]
v_accvgpr_read_b32 v[vgprValuC+84], acc156 // copy acc to vreg[156]
v_accvgpr_read_b32 v[vgprValuC+85], acc157 // copy acc to vreg[157]
v_accvgpr_read_b32 v[vgprValuC+86], acc158 // copy acc to vreg[158]
v_accvgpr_read_b32 v[vgprValuC+87], acc159 // copy acc to vreg[159]
s_nop 1                                            // 2 wait states required before reading vgpr

/* rC *= alpha batchElements=[(4, 0, 0, 0), (4, 1, 0, 0), (4, 2, 0, 0), (4, 3, 0, 0), (4, 4, 0, 0), (4, 5, 0, 0), (4, 6, 0, 0), (4, 7, 0, 0)] */
v_mul_lo_u32 v[vgprValuC+16], s[sgprAlpha], v[vgprValuC+16] // *= alpha
v_mul_lo_u32 v[vgprValuC+17], s[sgprAlpha], v[vgprValuC+17] // *= alpha
	;; [unrolled: 1-line block ×32, first 2 shown]
s_waitcnt vmcnt(0)                                 // wait C

/* apply mask, calc new C and issue writes */

/* StoreRemap: shift coord1 address */
s_mul_i32 s52, s[sgprStrideD1J], 128               // scale StrideD *= numRows(32) * bpe
s_add_u32  s[sgprSrdD+0], s[sgprSrdD+0], s52       // incToNextRow: gra SRD += inc(lower)
s_addc_u32  s[sgprSrdD+1], s[sgprSrdD+1], 0        // incToNextRow: gra SRD += inc(upper)
v_mov_b32 v10, 32                                  // set shift rows
_v_add_u32 v5, v5, v10                             // shift storeRemap coord1
v_mul_lo_u32 v12, s[sgprBeta], v12                 // C = C*beta
_v_add_u32 v[vgprValuC+16], v12, v[vgprValuC+16]   // finalSum = sum*alpha + C*beta
v_mul_lo_u32 v13, s[sgprBeta], v13                 // C = C*beta
_v_add_u32 v[vgprValuC+17], v13, v[vgprValuC+17]   // finalSum = sum*alpha + C*beta
	;; [unrolled: 2-line block ×4, first 2 shown]
_ds_store_b128 v7, v[16:19], offset:0              // storeRemap lw
v_mul_lo_u32 v24, s[sgprBeta], v24                 // C = C*beta
_v_add_u32 v[vgprValuC+28], v24, v[vgprValuC+28]   // finalSum = sum*alpha + C*beta
v_mul_lo_u32 v25, s[sgprBeta], v25                 // C = C*beta
_v_add_u32 v[vgprValuC+29], v25, v[vgprValuC+29]   // finalSum = sum*alpha + C*beta
v_mul_lo_u32 v26, s[sgprBeta], v26                 // C = C*beta
_v_add_u32 v[vgprValuC+30], v26, v[vgprValuC+30]   // finalSum = sum*alpha + C*beta
v_mul_lo_u32 v27, s[sgprBeta], v27                 // C = C*beta
_v_add_u32 v[vgprValuC+31], v27, v[vgprValuC+31]   // finalSum = sum*alpha + C*beta
_ds_store_b128 v7, v[28:31], offset:32             // storeRemap lw
v_mul_lo_u32 v32, s[sgprBeta], v32                 // C = C*beta
_v_add_u32 v[vgprValuC+36], v32, v[vgprValuC+36]   // finalSum = sum*alpha + C*beta
v_mul_lo_u32 v33, s[sgprBeta], v33                 // C = C*beta
_v_add_u32 v[vgprValuC+37], v33, v[vgprValuC+37]   // finalSum = sum*alpha + C*beta
v_mul_lo_u32 v34, s[sgprBeta], v34                 // C = C*beta
_v_add_u32 v[vgprValuC+38], v34, v[vgprValuC+38]   // finalSum = sum*alpha + C*beta
v_mul_lo_u32 v35, s[sgprBeta], v35                 // C = C*beta
_v_add_u32 v[vgprValuC+39], v35, v[vgprValuC+39]   // finalSum = sum*alpha + C*beta
_ds_store_b128 v7, v[36:39], offset:64             // storeRemap lw
	;; [unrolled: 9-line block ×3, first 2 shown]
v_mul_lo_u32 v56, s[sgprBeta], v56                 // C = C*beta
_v_add_u32 v[vgprValuC+60], v56, v[vgprValuC+60]   // finalSum = sum*alpha + C*beta
v_mul_lo_u32 v57, s[sgprBeta], v57                 // C = C*beta
_v_add_u32 v[vgprValuC+61], v57, v[vgprValuC+61]   // finalSum = sum*alpha + C*beta
v_mul_lo_u32 v58, s[sgprBeta], v58                 // C = C*beta
_v_add_u32 v[vgprValuC+62], v58, v[vgprValuC+62]   // finalSum = sum*alpha + C*beta
v_mul_lo_u32 v59, s[sgprBeta], v59                 // C = C*beta
_v_add_u32 v[vgprValuC+63], v59, v[vgprValuC+63]   // finalSum = sum*alpha + C*beta
_ds_store_b128 v7, v[60:63], offset:512            // storeRemap lw
v_mul_lo_u32 v64, s[sgprBeta], v64                 // C = C*beta
_v_add_u32 v[vgprValuC+68], v64, v[vgprValuC+68]   // finalSum = sum*alpha + C*beta
v_mul_lo_u32 v65, s[sgprBeta], v65                 // C = C*beta
_v_add_u32 v[vgprValuC+69], v65, v[vgprValuC+69]   // finalSum = sum*alpha + C*beta
v_mul_lo_u32 v66, s[sgprBeta], v66                 // C = C*beta
_v_add_u32 v[vgprValuC+70], v66, v[vgprValuC+70]   // finalSum = sum*alpha + C*beta
v_mul_lo_u32 v67, s[sgprBeta], v67                 // C = C*beta
_v_add_u32 v[vgprValuC+71], v67, v[vgprValuC+71]   // finalSum = sum*alpha + C*beta
_ds_store_b128 v7, v[68:71], offset:544            // storeRemap lw
	;; [unrolled: 9-line block ×4, first 2 shown]

/* Handle local read and global write */
s_waitcnt lgkmcnt(0)                               // wait for LDS write
s_barrier //wait all lds write finished

_ds_load_b128 v[12:15], v8, offset:0               // storeRemap lr
_ds_load_b128 v[16:19], v8, offset:1040            // storeRemap lr
_ds_load_b128 v[20:23], v8, offset:2080            // storeRemap lr
	;; [unrolled: 1-line block ×7, first 2 shown]

s_waitcnt lgkmcnt(7)                               // wait for LDS read
_v_add_u32 v11, v5, 0                              // coord1 += nColPerLoad
_v_add_u32 v10, v4, 0                              // coord0 += element index of load vector
_v_add_u32 v9, v6, 0                               // offset coord1 += nColPerLoad
v_cmp_lt_u32 s[52:53], v10, s[sgprSizeI]           // coord0 < size0
v_cmp_lt_u32 s[54:55], v11, s[sgprSizeJ]           // coord1 < size1
s_and_b64 s[54:55], s[52:53], s[54:55]             // in0 && in1
v_mul_lo_u32 v9, v9, s[sgprStrideD1J]              // coord1 element offset =  coord1 * StrideD
_v_add_lshl_u32 v9, v9, v10, 0x2                   // scale to BPE
v_cndmask_b32 v9, -1, v9, s[54:55]                 // clip if OOB. offset
_buffer_store_b128 v[12:15], v9, s[sgprSrdD:sgprSrdD+3], 0, offen, offset:0 // store D
s_waitcnt lgkmcnt(6)                               // wait for LDS read
_v_add_u32 v11, v5, 1                              // coord1 += nColPerLoad
_v_add_u32 v10, v4, 0                              // coord0 += element index of load vector
_v_add_u32 v9, v6, 1                               // offset coord1 += nColPerLoad
v_cmp_lt_u32 s[52:53], v10, s[sgprSizeI]           // coord0 < size0
v_cmp_lt_u32 s[54:55], v11, s[sgprSizeJ]           // coord1 < size1
s_and_b64 s[54:55], s[52:53], s[54:55]             // in0 && in1
v_mul_lo_u32 v9, v9, s[sgprStrideD1J]              // coord1 element offset =  coord1 * StrideD
_v_add_lshl_u32 v9, v9, v10, 0x2                   // scale to BPE
v_cndmask_b32 v9, -1, v9, s[54:55]                 // clip if OOB. offset
_buffer_store_b128 v[16:19], v9, s[sgprSrdD:sgprSrdD+3], 0, offen, offset:0 // store D
	;; [unrolled: 11-line block ×8, first 2 shown]

s_barrier //wait all lds read finished
s_nop 0                                            // 1 wait state required when next inst writes vgprs held by previous dwordx4 store inst
/* optSingleColVgpr=0 optSharedColVgpr=0 optSGPRUsage=BufferLoad_Edge_Mask optSrdIncForRow=1 */

/******************************************/
/* Global Write Alpha Beta Edge Batch #5 (d1,d0,vc1,vc0) = */
/*    (5,0,0,0:vw4); (5,1,0,0:vw4); (5,2,0,0:vw4); (5,3,0,0:vw4); (5,4,0,0:vw4); (5,5,0,0:vw4); (5,6,0,0:vw4); (5,7,0,0:vw4) */
/******************************************/

/* calc coords, apply mask, and issue loads (if necessary) */
/* (d1,vc1,d0,vc0)=(5,0,0,0) */
_v_add_co_u32 v1, vcc, v1, 32                      // coord1.1: coord1Vgpr += d1*sg1*VW + vc1
v_cmp_lt_u32 s[52:53], v0, s[sgprSizeI]            // coord0 < size0
v_cmp_lt_u32 s[56:57], v1, s[sgprSizeJ]            // coord1 < size1
s_and_b64 s[56:57], s[52:53], s[56:57]             // in0 && in1
_v_add_lshl_u32 v9, v2, v0, 0x2                    // scaleToBpe: accumulate d0 lower and *= bpe into Cin addr
v_cndmask_b32 v9, -1, v9, s[56:57]                 // LDC clip if OOB. offset
s_mul_i32 s52, s[sgprStrideC1J], 128               // scale StrideC *= numRows(32) * bpe
s_add_u32  s[sgprSrdC+0], s[sgprSrdC+0], s52       // incToNextRow: gra SRD += inc(lower)
s_addc_u32  s[sgprSrdC+1], s[sgprSrdC+1], 0        // incToNextRow: gra SRD += inc(upper)
_buffer_load_b128 v[12:15], v9, s[sgprSrdC:sgprSrdC+3], 0, offen offset:0 // load C for beta calc
_v_add_lshl_u32 v9, v3, v0, 0x2                    // scaleToBpe: accumulate d0 lower and *= bpe into Cin addr
v_cndmask_b32 v9, -1, v9, s[56:57]                 // LDD clip if OOB. offset
/* (d1,vc1,d0,vc0)=(5,0,1,0) */
_v_add_co_u32 v10, vcc, v0, 8                      // coord0.1: coord0 += d0*sg0*VW + vc0
v_cmp_lt_u32 s[52:53], v10, s[sgprSizeI]           // coord0 < size0
v_cmp_lt_u32 s[56:57], v1, s[sgprSizeJ]            // coord1 < size1
s_and_b64 s[56:57], s[52:53], s[56:57]             // in0 && in1
_v_add_lshl_u32 v20, v2, v10, 0x2                  // scaleToBpe: accumulate d0 lower and *= bpe into Cin addr
v_cndmask_b32 v20, -1, v20, s[56:57]               // LDC clip if OOB. offset
_buffer_load_b128 v[24:27], v20, s[sgprSrdC:sgprSrdC+3], 0, offen offset:0 // load C for beta calc
_v_add_lshl_u32 v20, v3, v10, 0x2                  // scaleToBpe: accumulate d0 lower and *= bpe into Cin addr
v_cndmask_b32 v20, -1, v20, s[56:57]               // LDD clip if OOB. offset
/* (d1,vc1,d0,vc0)=(5,0,2,0) */
_v_add_co_u32 v10, vcc, v0, 16                     // coord0.1: coord0 += d0*sg0*VW + vc0
v_cmp_lt_u32 s[52:53], v10, s[sgprSizeI]           // coord0 < size0
v_cmp_lt_u32 s[56:57], v1, s[sgprSizeJ]            // coord1 < size1
s_and_b64 s[56:57], s[52:53], s[56:57]             // in0 && in1
_v_add_lshl_u32 v21, v2, v10, 0x2                  // scaleToBpe: accumulate d0 lower and *= bpe into Cin addr
v_cndmask_b32 v21, -1, v21, s[56:57]               // LDC clip if OOB. offset
_buffer_load_b128 v[32:35], v21, s[sgprSrdC:sgprSrdC+3], 0, offen offset:0 // load C for beta calc
_v_add_lshl_u32 v21, v3, v10, 0x2                  // scaleToBpe: accumulate d0 lower and *= bpe into Cin addr
v_cndmask_b32 v21, -1, v21, s[56:57]               // LDD clip if OOB. offset
/* (d1,vc1,d0,vc0)=(5,0,3,0) */
_v_add_co_u32 v10, vcc, v0, 24                     // coord0.1: coord0 += d0*sg0*VW + vc0
v_cmp_lt_u32 s[52:53], v10, s[sgprSizeI]           // coord0 < size0
v_cmp_lt_u32 s[56:57], v1, s[sgprSizeJ]            // coord1 < size1
s_and_b64 s[56:57], s[52:53], s[56:57]             // in0 && in1
_v_add_lshl_u32 v22, v2, v10, 0x2                  // scaleToBpe: accumulate d0 lower and *= bpe into Cin addr
v_cndmask_b32 v22, -1, v22, s[56:57]               // LDC clip if OOB. offset
_buffer_load_b128 v[40:43], v22, s[sgprSrdC:sgprSrdC+3], 0, offen offset:0 // load C for beta calc
_v_add_lshl_u32 v22, v3, v10, 0x2                  // scaleToBpe: accumulate d0 lower and *= bpe into Cin addr
v_cndmask_b32 v22, -1, v22, s[56:57]               // LDD clip if OOB. offset
/* (d1,vc1,d0,vc0)=(5,0,4,0) */
s_mov_b32 s52, 128                                 // coordOffset0 d0=4 vc0=0
_v_add_co_u32 v10, vcc, v0, s52                    // coord0.2: coord0 += d0*sg0*VW + vc0
v_cmp_lt_u32 s[52:53], v10, s[sgprSizeI]           // coord0 < size0
v_cmp_lt_u32 s[56:57], v1, s[sgprSizeJ]            // coord1 < size1
s_and_b64 s[56:57], s[52:53], s[56:57]             // in0 && in1
_v_add_lshl_u32 v23, v2, v10, 0x2                  // scaleToBpe: accumulate d0 lower and *= bpe into Cin addr
v_cndmask_b32 v23, -1, v23, s[56:57]               // LDC clip if OOB. offset
_buffer_load_b128 v[56:59], v23, s[sgprSrdC:sgprSrdC+3], 0, offen offset:0 // load C for beta calc
_v_add_lshl_u32 v23, v3, v10, 0x2                  // scaleToBpe: accumulate d0 lower and *= bpe into Cin addr
v_cndmask_b32 v23, -1, v23, s[56:57]               // LDD clip if OOB. offset
/* (d1,vc1,d0,vc0)=(5,0,5,0) */
s_mov_b32 s52, 136                                 // coordOffset0 d0=5 vc0=0
_v_add_co_u32 v10, vcc, v0, s52                    // coord0.2: coord0 += d0*sg0*VW + vc0
	;; [unrolled: 11-line block ×4, first 2 shown]
v_cmp_lt_u32 s[52:53], v10, s[sgprSizeI]           // coord0 < size0
v_cmp_lt_u32 s[56:57], v1, s[sgprSizeJ]            // coord1 < size1
s_and_b64 s[56:57], s[52:53], s[56:57]             // in0 && in1
_v_add_lshl_u32 v49, v2, v10, 0x2                  // scaleToBpe: accumulate d0 lower and *= bpe into Cin addr
v_cndmask_b32 v49, -1, v49, s[56:57]               // LDC clip if OOB. offset
_buffer_load_b128 v[80:83], v49, s[sgprSrdC:sgprSrdC+3], 0, offen offset:0 // load C for beta calc
_v_add_lshl_u32 v49, v3, v10, 0x2                  // scaleToBpe: accumulate d0 lower and *= bpe into Cin addr
v_cndmask_b32 v49, -1, v49, s[56:57]               // LDD clip if OOB. offset
v_accvgpr_read_b32 v[vgprValuC+16], acc160 // copy acc to vreg[160]
v_accvgpr_read_b32 v[vgprValuC+17], acc161 // copy acc to vreg[161]
v_accvgpr_read_b32 v[vgprValuC+18], acc162 // copy acc to vreg[162]
v_accvgpr_read_b32 v[vgprValuC+19], acc163 // copy acc to vreg[163]
v_accvgpr_read_b32 v[vgprValuC+28], acc164 // copy acc to vreg[164]
v_accvgpr_read_b32 v[vgprValuC+29], acc165 // copy acc to vreg[165]
v_accvgpr_read_b32 v[vgprValuC+30], acc166 // copy acc to vreg[166]
v_accvgpr_read_b32 v[vgprValuC+31], acc167 // copy acc to vreg[167]
v_accvgpr_read_b32 v[vgprValuC+36], acc168 // copy acc to vreg[168]
v_accvgpr_read_b32 v[vgprValuC+37], acc169 // copy acc to vreg[169]
v_accvgpr_read_b32 v[vgprValuC+38], acc170 // copy acc to vreg[170]
v_accvgpr_read_b32 v[vgprValuC+39], acc171 // copy acc to vreg[171]
v_accvgpr_read_b32 v[vgprValuC+52], acc172 // copy acc to vreg[172]
v_accvgpr_read_b32 v[vgprValuC+53], acc173 // copy acc to vreg[173]
v_accvgpr_read_b32 v[vgprValuC+54], acc174 // copy acc to vreg[174]
v_accvgpr_read_b32 v[vgprValuC+55], acc175 // copy acc to vreg[175]
v_accvgpr_read_b32 v[vgprValuC+60], acc176 // copy acc to vreg[176]
v_accvgpr_read_b32 v[vgprValuC+61], acc177 // copy acc to vreg[177]
v_accvgpr_read_b32 v[vgprValuC+62], acc178 // copy acc to vreg[178]
v_accvgpr_read_b32 v[vgprValuC+63], acc179 // copy acc to vreg[179]
v_accvgpr_read_b32 v[vgprValuC+68], acc180 // copy acc to vreg[180]
v_accvgpr_read_b32 v[vgprValuC+69], acc181 // copy acc to vreg[181]
v_accvgpr_read_b32 v[vgprValuC+70], acc182 // copy acc to vreg[182]
v_accvgpr_read_b32 v[vgprValuC+71], acc183 // copy acc to vreg[183]
v_accvgpr_read_b32 v[vgprValuC+76], acc184 // copy acc to vreg[184]
v_accvgpr_read_b32 v[vgprValuC+77], acc185 // copy acc to vreg[185]
v_accvgpr_read_b32 v[vgprValuC+78], acc186 // copy acc to vreg[186]
v_accvgpr_read_b32 v[vgprValuC+79], acc187 // copy acc to vreg[187]
v_accvgpr_read_b32 v[vgprValuC+84], acc188 // copy acc to vreg[188]
v_accvgpr_read_b32 v[vgprValuC+85], acc189 // copy acc to vreg[189]
v_accvgpr_read_b32 v[vgprValuC+86], acc190 // copy acc to vreg[190]
v_accvgpr_read_b32 v[vgprValuC+87], acc191 // copy acc to vreg[191]
s_nop 1                                            // 2 wait states required before reading vgpr

/* rC *= alpha batchElements=[(5, 0, 0, 0), (5, 1, 0, 0), (5, 2, 0, 0), (5, 3, 0, 0), (5, 4, 0, 0), (5, 5, 0, 0), (5, 6, 0, 0), (5, 7, 0, 0)] */
v_mul_lo_u32 v[vgprValuC+16], s[sgprAlpha], v[vgprValuC+16] // *= alpha
v_mul_lo_u32 v[vgprValuC+17], s[sgprAlpha], v[vgprValuC+17] // *= alpha
	;; [unrolled: 1-line block ×32, first 2 shown]
s_waitcnt vmcnt(0)                                 // wait C

/* apply mask, calc new C and issue writes */

/* StoreRemap: shift coord1 address */
s_mul_i32 s52, s[sgprStrideD1J], 128               // scale StrideD *= numRows(32) * bpe
s_add_u32  s[sgprSrdD+0], s[sgprSrdD+0], s52       // incToNextRow: gra SRD += inc(lower)
s_addc_u32  s[sgprSrdD+1], s[sgprSrdD+1], 0        // incToNextRow: gra SRD += inc(upper)
v_mov_b32 v10, 32                                  // set shift rows
_v_add_u32 v5, v5, v10                             // shift storeRemap coord1
v_mul_lo_u32 v12, s[sgprBeta], v12                 // C = C*beta
_v_add_u32 v[vgprValuC+16], v12, v[vgprValuC+16]   // finalSum = sum*alpha + C*beta
v_mul_lo_u32 v13, s[sgprBeta], v13                 // C = C*beta
_v_add_u32 v[vgprValuC+17], v13, v[vgprValuC+17]   // finalSum = sum*alpha + C*beta
	;; [unrolled: 2-line block ×4, first 2 shown]
_ds_store_b128 v7, v[16:19], offset:0              // storeRemap lw
v_mul_lo_u32 v24, s[sgprBeta], v24                 // C = C*beta
_v_add_u32 v[vgprValuC+28], v24, v[vgprValuC+28]   // finalSum = sum*alpha + C*beta
v_mul_lo_u32 v25, s[sgprBeta], v25                 // C = C*beta
_v_add_u32 v[vgprValuC+29], v25, v[vgprValuC+29]   // finalSum = sum*alpha + C*beta
v_mul_lo_u32 v26, s[sgprBeta], v26                 // C = C*beta
_v_add_u32 v[vgprValuC+30], v26, v[vgprValuC+30]   // finalSum = sum*alpha + C*beta
v_mul_lo_u32 v27, s[sgprBeta], v27                 // C = C*beta
_v_add_u32 v[vgprValuC+31], v27, v[vgprValuC+31]   // finalSum = sum*alpha + C*beta
_ds_store_b128 v7, v[28:31], offset:32             // storeRemap lw
v_mul_lo_u32 v32, s[sgprBeta], v32                 // C = C*beta
_v_add_u32 v[vgprValuC+36], v32, v[vgprValuC+36]   // finalSum = sum*alpha + C*beta
v_mul_lo_u32 v33, s[sgprBeta], v33                 // C = C*beta
_v_add_u32 v[vgprValuC+37], v33, v[vgprValuC+37]   // finalSum = sum*alpha + C*beta
v_mul_lo_u32 v34, s[sgprBeta], v34                 // C = C*beta
_v_add_u32 v[vgprValuC+38], v34, v[vgprValuC+38]   // finalSum = sum*alpha + C*beta
v_mul_lo_u32 v35, s[sgprBeta], v35                 // C = C*beta
_v_add_u32 v[vgprValuC+39], v35, v[vgprValuC+39]   // finalSum = sum*alpha + C*beta
_ds_store_b128 v7, v[36:39], offset:64             // storeRemap lw
v_mul_lo_u32 v40, s[sgprBeta], v40                 // C = C*beta
_v_add_u32 v[vgprValuC+52], v40, v[vgprValuC+52]   // finalSum = sum*alpha + C*beta
v_mul_lo_u32 v41, s[sgprBeta], v41                 // C = C*beta
_v_add_u32 v[vgprValuC+53], v41, v[vgprValuC+53]   // finalSum = sum*alpha + C*beta
v_mul_lo_u32 v42, s[sgprBeta], v42                 // C = C*beta
_v_add_u32 v[vgprValuC+54], v42, v[vgprValuC+54]   // finalSum = sum*alpha + C*beta
v_mul_lo_u32 v43, s[sgprBeta], v43                 // C = C*beta
_v_add_u32 v[vgprValuC+55], v43, v[vgprValuC+55]   // finalSum = sum*alpha + C*beta
_ds_store_b128 v7, v[52:55], offset:96             // storeRemap lw
v_mul_lo_u32 v56, s[sgprBeta], v56                 // C = C*beta
_v_add_u32 v[vgprValuC+60], v56, v[vgprValuC+60]   // finalSum = sum*alpha + C*beta
v_mul_lo_u32 v57, s[sgprBeta], v57                 // C = C*beta
_v_add_u32 v[vgprValuC+61], v57, v[vgprValuC+61]   // finalSum = sum*alpha + C*beta
v_mul_lo_u32 v58, s[sgprBeta], v58                 // C = C*beta
_v_add_u32 v[vgprValuC+62], v58, v[vgprValuC+62]   // finalSum = sum*alpha + C*beta
v_mul_lo_u32 v59, s[sgprBeta], v59                 // C = C*beta
_v_add_u32 v[vgprValuC+63], v59, v[vgprValuC+63]   // finalSum = sum*alpha + C*beta
_ds_store_b128 v7, v[60:63], offset:512            // storeRemap lw
v_mul_lo_u32 v64, s[sgprBeta], v64                 // C = C*beta
_v_add_u32 v[vgprValuC+68], v64, v[vgprValuC+68]   // finalSum = sum*alpha + C*beta
v_mul_lo_u32 v65, s[sgprBeta], v65                 // C = C*beta
_v_add_u32 v[vgprValuC+69], v65, v[vgprValuC+69]   // finalSum = sum*alpha + C*beta
v_mul_lo_u32 v66, s[sgprBeta], v66                 // C = C*beta
_v_add_u32 v[vgprValuC+70], v66, v[vgprValuC+70]   // finalSum = sum*alpha + C*beta
v_mul_lo_u32 v67, s[sgprBeta], v67                 // C = C*beta
_v_add_u32 v[vgprValuC+71], v67, v[vgprValuC+71]   // finalSum = sum*alpha + C*beta
_ds_store_b128 v7, v[68:71], offset:544            // storeRemap lw
	;; [unrolled: 9-line block ×4, first 2 shown]

/* Handle local read and global write */
s_waitcnt lgkmcnt(0)                               // wait for LDS write
s_barrier //wait all lds write finished

_ds_load_b128 v[12:15], v8, offset:0               // storeRemap lr
_ds_load_b128 v[16:19], v8, offset:1040            // storeRemap lr
_ds_load_b128 v[20:23], v8, offset:2080            // storeRemap lr
	;; [unrolled: 1-line block ×7, first 2 shown]

s_waitcnt lgkmcnt(7)                               // wait for LDS read
_v_add_u32 v11, v5, 0                              // coord1 += nColPerLoad
_v_add_u32 v10, v4, 0                              // coord0 += element index of load vector
_v_add_u32 v9, v6, 0                               // offset coord1 += nColPerLoad
v_cmp_lt_u32 s[52:53], v10, s[sgprSizeI]           // coord0 < size0
v_cmp_lt_u32 s[54:55], v11, s[sgprSizeJ]           // coord1 < size1
s_and_b64 s[54:55], s[52:53], s[54:55]             // in0 && in1
v_mul_lo_u32 v9, v9, s[sgprStrideD1J]              // coord1 element offset =  coord1 * StrideD
_v_add_lshl_u32 v9, v9, v10, 0x2                   // scale to BPE
v_cndmask_b32 v9, -1, v9, s[54:55]                 // clip if OOB. offset
_buffer_store_b128 v[12:15], v9, s[sgprSrdD:sgprSrdD+3], 0, offen, offset:0 // store D
s_waitcnt lgkmcnt(6)                               // wait for LDS read
_v_add_u32 v11, v5, 1                              // coord1 += nColPerLoad
_v_add_u32 v10, v4, 0                              // coord0 += element index of load vector
_v_add_u32 v9, v6, 1                               // offset coord1 += nColPerLoad
v_cmp_lt_u32 s[52:53], v10, s[sgprSizeI]           // coord0 < size0
v_cmp_lt_u32 s[54:55], v11, s[sgprSizeJ]           // coord1 < size1
s_and_b64 s[54:55], s[52:53], s[54:55]             // in0 && in1
v_mul_lo_u32 v9, v9, s[sgprStrideD1J]              // coord1 element offset =  coord1 * StrideD
_v_add_lshl_u32 v9, v9, v10, 0x2                   // scale to BPE
v_cndmask_b32 v9, -1, v9, s[54:55]                 // clip if OOB. offset
_buffer_store_b128 v[16:19], v9, s[sgprSrdD:sgprSrdD+3], 0, offen, offset:0 // store D
	;; [unrolled: 11-line block ×8, first 2 shown]

s_barrier //wait all lds read finished
s_nop 0                                            // 1 wait state required when next inst writes vgprs held by previous dwordx4 store inst
/* optSingleColVgpr=0 optSharedColVgpr=0 optSGPRUsage=BufferLoad_Edge_Mask optSrdIncForRow=1 */

/******************************************/
/* Global Write Alpha Beta Edge Batch #6 (d1,d0,vc1,vc0) = */
/*    (6,0,0,0:vw4); (6,1,0,0:vw4); (6,2,0,0:vw4); (6,3,0,0:vw4); (6,4,0,0:vw4); (6,5,0,0:vw4); (6,6,0,0:vw4); (6,7,0,0:vw4) */
/******************************************/

/* calc coords, apply mask, and issue loads (if necessary) */
/* (d1,vc1,d0,vc0)=(6,0,0,0) */
_v_add_co_u32 v1, vcc, v1, 32                      // coord1.1: coord1Vgpr += d1*sg1*VW + vc1
v_cmp_lt_u32 s[52:53], v0, s[sgprSizeI]            // coord0 < size0
v_cmp_lt_u32 s[56:57], v1, s[sgprSizeJ]            // coord1 < size1
s_and_b64 s[56:57], s[52:53], s[56:57]             // in0 && in1
_v_add_lshl_u32 v9, v2, v0, 0x2                    // scaleToBpe: accumulate d0 lower and *= bpe into Cin addr
v_cndmask_b32 v9, -1, v9, s[56:57]                 // LDC clip if OOB. offset
s_mul_i32 s52, s[sgprStrideC1J], 128               // scale StrideC *= numRows(32) * bpe
s_add_u32  s[sgprSrdC+0], s[sgprSrdC+0], s52       // incToNextRow: gra SRD += inc(lower)
s_addc_u32  s[sgprSrdC+1], s[sgprSrdC+1], 0        // incToNextRow: gra SRD += inc(upper)
_buffer_load_b128 v[12:15], v9, s[sgprSrdC:sgprSrdC+3], 0, offen offset:0 // load C for beta calc
_v_add_lshl_u32 v9, v3, v0, 0x2                    // scaleToBpe: accumulate d0 lower and *= bpe into Cin addr
v_cndmask_b32 v9, -1, v9, s[56:57]                 // LDD clip if OOB. offset
/* (d1,vc1,d0,vc0)=(6,0,1,0) */
_v_add_co_u32 v10, vcc, v0, 8                      // coord0.1: coord0 += d0*sg0*VW + vc0
v_cmp_lt_u32 s[52:53], v10, s[sgprSizeI]           // coord0 < size0
v_cmp_lt_u32 s[56:57], v1, s[sgprSizeJ]            // coord1 < size1
s_and_b64 s[56:57], s[52:53], s[56:57]             // in0 && in1
_v_add_lshl_u32 v20, v2, v10, 0x2                  // scaleToBpe: accumulate d0 lower and *= bpe into Cin addr
v_cndmask_b32 v20, -1, v20, s[56:57]               // LDC clip if OOB. offset
_buffer_load_b128 v[24:27], v20, s[sgprSrdC:sgprSrdC+3], 0, offen offset:0 // load C for beta calc
_v_add_lshl_u32 v20, v3, v10, 0x2                  // scaleToBpe: accumulate d0 lower and *= bpe into Cin addr
v_cndmask_b32 v20, -1, v20, s[56:57]               // LDD clip if OOB. offset
/* (d1,vc1,d0,vc0)=(6,0,2,0) */
_v_add_co_u32 v10, vcc, v0, 16                     // coord0.1: coord0 += d0*sg0*VW + vc0
v_cmp_lt_u32 s[52:53], v10, s[sgprSizeI]           // coord0 < size0
v_cmp_lt_u32 s[56:57], v1, s[sgprSizeJ]            // coord1 < size1
s_and_b64 s[56:57], s[52:53], s[56:57]             // in0 && in1
_v_add_lshl_u32 v21, v2, v10, 0x2                  // scaleToBpe: accumulate d0 lower and *= bpe into Cin addr
v_cndmask_b32 v21, -1, v21, s[56:57]               // LDC clip if OOB. offset
_buffer_load_b128 v[32:35], v21, s[sgprSrdC:sgprSrdC+3], 0, offen offset:0 // load C for beta calc
_v_add_lshl_u32 v21, v3, v10, 0x2                  // scaleToBpe: accumulate d0 lower and *= bpe into Cin addr
v_cndmask_b32 v21, -1, v21, s[56:57]               // LDD clip if OOB. offset
/* (d1,vc1,d0,vc0)=(6,0,3,0) */
_v_add_co_u32 v10, vcc, v0, 24                     // coord0.1: coord0 += d0*sg0*VW + vc0
v_cmp_lt_u32 s[52:53], v10, s[sgprSizeI]           // coord0 < size0
v_cmp_lt_u32 s[56:57], v1, s[sgprSizeJ]            // coord1 < size1
s_and_b64 s[56:57], s[52:53], s[56:57]             // in0 && in1
_v_add_lshl_u32 v22, v2, v10, 0x2                  // scaleToBpe: accumulate d0 lower and *= bpe into Cin addr
v_cndmask_b32 v22, -1, v22, s[56:57]               // LDC clip if OOB. offset
_buffer_load_b128 v[40:43], v22, s[sgprSrdC:sgprSrdC+3], 0, offen offset:0 // load C for beta calc
_v_add_lshl_u32 v22, v3, v10, 0x2                  // scaleToBpe: accumulate d0 lower and *= bpe into Cin addr
v_cndmask_b32 v22, -1, v22, s[56:57]               // LDD clip if OOB. offset
/* (d1,vc1,d0,vc0)=(6,0,4,0) */
s_mov_b32 s52, 128                                 // coordOffset0 d0=4 vc0=0
_v_add_co_u32 v10, vcc, v0, s52                    // coord0.2: coord0 += d0*sg0*VW + vc0
v_cmp_lt_u32 s[52:53], v10, s[sgprSizeI]           // coord0 < size0
v_cmp_lt_u32 s[56:57], v1, s[sgprSizeJ]            // coord1 < size1
s_and_b64 s[56:57], s[52:53], s[56:57]             // in0 && in1
_v_add_lshl_u32 v23, v2, v10, 0x2                  // scaleToBpe: accumulate d0 lower and *= bpe into Cin addr
v_cndmask_b32 v23, -1, v23, s[56:57]               // LDC clip if OOB. offset
_buffer_load_b128 v[56:59], v23, s[sgprSrdC:sgprSrdC+3], 0, offen offset:0 // load C for beta calc
_v_add_lshl_u32 v23, v3, v10, 0x2                  // scaleToBpe: accumulate d0 lower and *= bpe into Cin addr
v_cndmask_b32 v23, -1, v23, s[56:57]               // LDD clip if OOB. offset
/* (d1,vc1,d0,vc0)=(6,0,5,0) */
s_mov_b32 s52, 136                                 // coordOffset0 d0=5 vc0=0
_v_add_co_u32 v10, vcc, v0, s52                    // coord0.2: coord0 += d0*sg0*VW + vc0
	;; [unrolled: 11-line block ×4, first 2 shown]
v_cmp_lt_u32 s[52:53], v10, s[sgprSizeI]           // coord0 < size0
v_cmp_lt_u32 s[56:57], v1, s[sgprSizeJ]            // coord1 < size1
s_and_b64 s[56:57], s[52:53], s[56:57]             // in0 && in1
_v_add_lshl_u32 v49, v2, v10, 0x2                  // scaleToBpe: accumulate d0 lower and *= bpe into Cin addr
v_cndmask_b32 v49, -1, v49, s[56:57]               // LDC clip if OOB. offset
_buffer_load_b128 v[80:83], v49, s[sgprSrdC:sgprSrdC+3], 0, offen offset:0 // load C for beta calc
_v_add_lshl_u32 v49, v3, v10, 0x2                  // scaleToBpe: accumulate d0 lower and *= bpe into Cin addr
v_cndmask_b32 v49, -1, v49, s[56:57]               // LDD clip if OOB. offset
v_accvgpr_read_b32 v[vgprValuC+16], acc192 // copy acc to vreg[192]
v_accvgpr_read_b32 v[vgprValuC+17], acc193 // copy acc to vreg[193]
v_accvgpr_read_b32 v[vgprValuC+18], acc194 // copy acc to vreg[194]
v_accvgpr_read_b32 v[vgprValuC+19], acc195 // copy acc to vreg[195]
v_accvgpr_read_b32 v[vgprValuC+28], acc196 // copy acc to vreg[196]
v_accvgpr_read_b32 v[vgprValuC+29], acc197 // copy acc to vreg[197]
v_accvgpr_read_b32 v[vgprValuC+30], acc198 // copy acc to vreg[198]
v_accvgpr_read_b32 v[vgprValuC+31], acc199 // copy acc to vreg[199]
v_accvgpr_read_b32 v[vgprValuC+36], acc200 // copy acc to vreg[200]
v_accvgpr_read_b32 v[vgprValuC+37], acc201 // copy acc to vreg[201]
v_accvgpr_read_b32 v[vgprValuC+38], acc202 // copy acc to vreg[202]
v_accvgpr_read_b32 v[vgprValuC+39], acc203 // copy acc to vreg[203]
v_accvgpr_read_b32 v[vgprValuC+52], acc204 // copy acc to vreg[204]
v_accvgpr_read_b32 v[vgprValuC+53], acc205 // copy acc to vreg[205]
v_accvgpr_read_b32 v[vgprValuC+54], acc206 // copy acc to vreg[206]
v_accvgpr_read_b32 v[vgprValuC+55], acc207 // copy acc to vreg[207]
v_accvgpr_read_b32 v[vgprValuC+60], acc208 // copy acc to vreg[208]
v_accvgpr_read_b32 v[vgprValuC+61], acc209 // copy acc to vreg[209]
v_accvgpr_read_b32 v[vgprValuC+62], acc210 // copy acc to vreg[210]
v_accvgpr_read_b32 v[vgprValuC+63], acc211 // copy acc to vreg[211]
v_accvgpr_read_b32 v[vgprValuC+68], acc212 // copy acc to vreg[212]
v_accvgpr_read_b32 v[vgprValuC+69], acc213 // copy acc to vreg[213]
v_accvgpr_read_b32 v[vgprValuC+70], acc214 // copy acc to vreg[214]
v_accvgpr_read_b32 v[vgprValuC+71], acc215 // copy acc to vreg[215]
v_accvgpr_read_b32 v[vgprValuC+76], acc216 // copy acc to vreg[216]
v_accvgpr_read_b32 v[vgprValuC+77], acc217 // copy acc to vreg[217]
v_accvgpr_read_b32 v[vgprValuC+78], acc218 // copy acc to vreg[218]
v_accvgpr_read_b32 v[vgprValuC+79], acc219 // copy acc to vreg[219]
v_accvgpr_read_b32 v[vgprValuC+84], acc220 // copy acc to vreg[220]
v_accvgpr_read_b32 v[vgprValuC+85], acc221 // copy acc to vreg[221]
v_accvgpr_read_b32 v[vgprValuC+86], acc222 // copy acc to vreg[222]
v_accvgpr_read_b32 v[vgprValuC+87], acc223 // copy acc to vreg[223]
s_nop 1                                            // 2 wait states required before reading vgpr

/* rC *= alpha batchElements=[(6, 0, 0, 0), (6, 1, 0, 0), (6, 2, 0, 0), (6, 3, 0, 0), (6, 4, 0, 0), (6, 5, 0, 0), (6, 6, 0, 0), (6, 7, 0, 0)] */
v_mul_lo_u32 v[vgprValuC+16], s[sgprAlpha], v[vgprValuC+16] // *= alpha
v_mul_lo_u32 v[vgprValuC+17], s[sgprAlpha], v[vgprValuC+17] // *= alpha
	;; [unrolled: 1-line block ×32, first 2 shown]
s_waitcnt vmcnt(0)                                 // wait C

/* apply mask, calc new C and issue writes */

/* StoreRemap: shift coord1 address */
s_mul_i32 s52, s[sgprStrideD1J], 128               // scale StrideD *= numRows(32) * bpe
s_add_u32  s[sgprSrdD+0], s[sgprSrdD+0], s52       // incToNextRow: gra SRD += inc(lower)
s_addc_u32  s[sgprSrdD+1], s[sgprSrdD+1], 0        // incToNextRow: gra SRD += inc(upper)
v_mov_b32 v10, 32                                  // set shift rows
_v_add_u32 v5, v5, v10                             // shift storeRemap coord1
v_mul_lo_u32 v12, s[sgprBeta], v12                 // C = C*beta
_v_add_u32 v[vgprValuC+16], v12, v[vgprValuC+16]   // finalSum = sum*alpha + C*beta
v_mul_lo_u32 v13, s[sgprBeta], v13                 // C = C*beta
_v_add_u32 v[vgprValuC+17], v13, v[vgprValuC+17]   // finalSum = sum*alpha + C*beta
	;; [unrolled: 2-line block ×4, first 2 shown]
_ds_store_b128 v7, v[16:19], offset:0              // storeRemap lw
v_mul_lo_u32 v24, s[sgprBeta], v24                 // C = C*beta
_v_add_u32 v[vgprValuC+28], v24, v[vgprValuC+28]   // finalSum = sum*alpha + C*beta
v_mul_lo_u32 v25, s[sgprBeta], v25                 // C = C*beta
_v_add_u32 v[vgprValuC+29], v25, v[vgprValuC+29]   // finalSum = sum*alpha + C*beta
v_mul_lo_u32 v26, s[sgprBeta], v26                 // C = C*beta
_v_add_u32 v[vgprValuC+30], v26, v[vgprValuC+30]   // finalSum = sum*alpha + C*beta
v_mul_lo_u32 v27, s[sgprBeta], v27                 // C = C*beta
_v_add_u32 v[vgprValuC+31], v27, v[vgprValuC+31]   // finalSum = sum*alpha + C*beta
_ds_store_b128 v7, v[28:31], offset:32             // storeRemap lw
v_mul_lo_u32 v32, s[sgprBeta], v32                 // C = C*beta
_v_add_u32 v[vgprValuC+36], v32, v[vgprValuC+36]   // finalSum = sum*alpha + C*beta
v_mul_lo_u32 v33, s[sgprBeta], v33                 // C = C*beta
_v_add_u32 v[vgprValuC+37], v33, v[vgprValuC+37]   // finalSum = sum*alpha + C*beta
v_mul_lo_u32 v34, s[sgprBeta], v34                 // C = C*beta
_v_add_u32 v[vgprValuC+38], v34, v[vgprValuC+38]   // finalSum = sum*alpha + C*beta
v_mul_lo_u32 v35, s[sgprBeta], v35                 // C = C*beta
_v_add_u32 v[vgprValuC+39], v35, v[vgprValuC+39]   // finalSum = sum*alpha + C*beta
_ds_store_b128 v7, v[36:39], offset:64             // storeRemap lw
	;; [unrolled: 9-line block ×3, first 2 shown]
v_mul_lo_u32 v56, s[sgprBeta], v56                 // C = C*beta
_v_add_u32 v[vgprValuC+60], v56, v[vgprValuC+60]   // finalSum = sum*alpha + C*beta
v_mul_lo_u32 v57, s[sgprBeta], v57                 // C = C*beta
_v_add_u32 v[vgprValuC+61], v57, v[vgprValuC+61]   // finalSum = sum*alpha + C*beta
v_mul_lo_u32 v58, s[sgprBeta], v58                 // C = C*beta
_v_add_u32 v[vgprValuC+62], v58, v[vgprValuC+62]   // finalSum = sum*alpha + C*beta
v_mul_lo_u32 v59, s[sgprBeta], v59                 // C = C*beta
_v_add_u32 v[vgprValuC+63], v59, v[vgprValuC+63]   // finalSum = sum*alpha + C*beta
_ds_store_b128 v7, v[60:63], offset:512            // storeRemap lw
v_mul_lo_u32 v64, s[sgprBeta], v64                 // C = C*beta
_v_add_u32 v[vgprValuC+68], v64, v[vgprValuC+68]   // finalSum = sum*alpha + C*beta
v_mul_lo_u32 v65, s[sgprBeta], v65                 // C = C*beta
_v_add_u32 v[vgprValuC+69], v65, v[vgprValuC+69]   // finalSum = sum*alpha + C*beta
v_mul_lo_u32 v66, s[sgprBeta], v66                 // C = C*beta
_v_add_u32 v[vgprValuC+70], v66, v[vgprValuC+70]   // finalSum = sum*alpha + C*beta
v_mul_lo_u32 v67, s[sgprBeta], v67                 // C = C*beta
_v_add_u32 v[vgprValuC+71], v67, v[vgprValuC+71]   // finalSum = sum*alpha + C*beta
_ds_store_b128 v7, v[68:71], offset:544            // storeRemap lw
	;; [unrolled: 9-line block ×4, first 2 shown]

/* Handle local read and global write */
s_waitcnt lgkmcnt(0)                               // wait for LDS write
s_barrier //wait all lds write finished

_ds_load_b128 v[12:15], v8, offset:0               // storeRemap lr
_ds_load_b128 v[16:19], v8, offset:1040            // storeRemap lr
_ds_load_b128 v[20:23], v8, offset:2080            // storeRemap lr
_ds_load_b128 v[24:27], v8, offset:3120            // storeRemap lr
_ds_load_b128 v[28:31], v8, offset:4160            // storeRemap lr
_ds_load_b128 v[32:35], v8, offset:5200            // storeRemap lr
_ds_load_b128 v[36:39], v8, offset:6240            // storeRemap lr
_ds_load_b128 v[40:43], v8, offset:7280            // storeRemap lr

s_waitcnt lgkmcnt(7)                               // wait for LDS read
_v_add_u32 v11, v5, 0                              // coord1 += nColPerLoad
_v_add_u32 v10, v4, 0                              // coord0 += element index of load vector
_v_add_u32 v9, v6, 0                               // offset coord1 += nColPerLoad
v_cmp_lt_u32 s[52:53], v10, s[sgprSizeI]           // coord0 < size0
v_cmp_lt_u32 s[54:55], v11, s[sgprSizeJ]           // coord1 < size1
s_and_b64 s[54:55], s[52:53], s[54:55]             // in0 && in1
v_mul_lo_u32 v9, v9, s[sgprStrideD1J]              // coord1 element offset =  coord1 * StrideD
_v_add_lshl_u32 v9, v9, v10, 0x2                   // scale to BPE
v_cndmask_b32 v9, -1, v9, s[54:55]                 // clip if OOB. offset
_buffer_store_b128 v[12:15], v9, s[sgprSrdD:sgprSrdD+3], 0, offen, offset:0 // store D
s_waitcnt lgkmcnt(6)                               // wait for LDS read
_v_add_u32 v11, v5, 1                              // coord1 += nColPerLoad
_v_add_u32 v10, v4, 0                              // coord0 += element index of load vector
_v_add_u32 v9, v6, 1                               // offset coord1 += nColPerLoad
v_cmp_lt_u32 s[52:53], v10, s[sgprSizeI]           // coord0 < size0
v_cmp_lt_u32 s[54:55], v11, s[sgprSizeJ]           // coord1 < size1
s_and_b64 s[54:55], s[52:53], s[54:55]             // in0 && in1
v_mul_lo_u32 v9, v9, s[sgprStrideD1J]              // coord1 element offset =  coord1 * StrideD
_v_add_lshl_u32 v9, v9, v10, 0x2                   // scale to BPE
v_cndmask_b32 v9, -1, v9, s[54:55]                 // clip if OOB. offset
_buffer_store_b128 v[16:19], v9, s[sgprSrdD:sgprSrdD+3], 0, offen, offset:0 // store D
	;; [unrolled: 11-line block ×8, first 2 shown]

s_barrier //wait all lds read finished
s_nop 0                                            // 1 wait state required when next inst writes vgprs held by previous dwordx4 store inst
/* optSingleColVgpr=0 optSharedColVgpr=0 optSGPRUsage=BufferLoad_Edge_Mask optSrdIncForRow=1 */

/******************************************/
/* Global Write Alpha Beta Edge Batch #7 (d1,d0,vc1,vc0) = */
/*    (7,0,0,0:vw4); (7,1,0,0:vw4); (7,2,0,0:vw4); (7,3,0,0:vw4); (7,4,0,0:vw4); (7,5,0,0:vw4); (7,6,0,0:vw4); (7,7,0,0:vw4) */
/******************************************/

/* calc coords, apply mask, and issue loads (if necessary) */
/* (d1,vc1,d0,vc0)=(7,0,0,0) */
_v_add_co_u32 v1, vcc, v1, 32                      // coord1.1: coord1Vgpr += d1*sg1*VW + vc1
v_cmp_lt_u32 s[52:53], v0, s[sgprSizeI]            // coord0 < size0
v_cmp_lt_u32 s[56:57], v1, s[sgprSizeJ]            // coord1 < size1
s_and_b64 s[56:57], s[52:53], s[56:57]             // in0 && in1
_v_add_lshl_u32 v9, v2, v0, 0x2                    // scaleToBpe: accumulate d0 lower and *= bpe into Cin addr
v_cndmask_b32 v9, -1, v9, s[56:57]                 // LDC clip if OOB. offset
s_mul_i32 s52, s[sgprStrideC1J], 128               // scale StrideC *= numRows(32) * bpe
s_add_u32  s[sgprSrdC+0], s[sgprSrdC+0], s52       // incToNextRow: gra SRD += inc(lower)
s_addc_u32  s[sgprSrdC+1], s[sgprSrdC+1], 0        // incToNextRow: gra SRD += inc(upper)
_buffer_load_b128 v[12:15], v9, s[sgprSrdC:sgprSrdC+3], 0, offen offset:0 // load C for beta calc
_v_add_lshl_u32 v9, v3, v0, 0x2                    // scaleToBpe: accumulate d0 lower and *= bpe into Cin addr
v_cndmask_b32 v9, -1, v9, s[56:57]                 // LDD clip if OOB. offset
/* (d1,vc1,d0,vc0)=(7,0,1,0) */
_v_add_co_u32 v10, vcc, v0, 8                      // coord0.1: coord0 += d0*sg0*VW + vc0
v_cmp_lt_u32 s[52:53], v10, s[sgprSizeI]           // coord0 < size0
v_cmp_lt_u32 s[56:57], v1, s[sgprSizeJ]            // coord1 < size1
s_and_b64 s[56:57], s[52:53], s[56:57]             // in0 && in1
_v_add_lshl_u32 v20, v2, v10, 0x2                  // scaleToBpe: accumulate d0 lower and *= bpe into Cin addr
v_cndmask_b32 v20, -1, v20, s[56:57]               // LDC clip if OOB. offset
_buffer_load_b128 v[24:27], v20, s[sgprSrdC:sgprSrdC+3], 0, offen offset:0 // load C for beta calc
_v_add_lshl_u32 v20, v3, v10, 0x2                  // scaleToBpe: accumulate d0 lower and *= bpe into Cin addr
v_cndmask_b32 v20, -1, v20, s[56:57]               // LDD clip if OOB. offset
/* (d1,vc1,d0,vc0)=(7,0,2,0) */
_v_add_co_u32 v10, vcc, v0, 16                     // coord0.1: coord0 += d0*sg0*VW + vc0
v_cmp_lt_u32 s[52:53], v10, s[sgprSizeI]           // coord0 < size0
v_cmp_lt_u32 s[56:57], v1, s[sgprSizeJ]            // coord1 < size1
s_and_b64 s[56:57], s[52:53], s[56:57]             // in0 && in1
_v_add_lshl_u32 v21, v2, v10, 0x2                  // scaleToBpe: accumulate d0 lower and *= bpe into Cin addr
v_cndmask_b32 v21, -1, v21, s[56:57]               // LDC clip if OOB. offset
_buffer_load_b128 v[32:35], v21, s[sgprSrdC:sgprSrdC+3], 0, offen offset:0 // load C for beta calc
_v_add_lshl_u32 v21, v3, v10, 0x2                  // scaleToBpe: accumulate d0 lower and *= bpe into Cin addr
v_cndmask_b32 v21, -1, v21, s[56:57]               // LDD clip if OOB. offset
/* (d1,vc1,d0,vc0)=(7,0,3,0) */
_v_add_co_u32 v10, vcc, v0, 24                     // coord0.1: coord0 += d0*sg0*VW + vc0
v_cmp_lt_u32 s[52:53], v10, s[sgprSizeI]           // coord0 < size0
v_cmp_lt_u32 s[56:57], v1, s[sgprSizeJ]            // coord1 < size1
s_and_b64 s[56:57], s[52:53], s[56:57]             // in0 && in1
_v_add_lshl_u32 v22, v2, v10, 0x2                  // scaleToBpe: accumulate d0 lower and *= bpe into Cin addr
v_cndmask_b32 v22, -1, v22, s[56:57]               // LDC clip if OOB. offset
_buffer_load_b128 v[40:43], v22, s[sgprSrdC:sgprSrdC+3], 0, offen offset:0 // load C for beta calc
_v_add_lshl_u32 v22, v3, v10, 0x2                  // scaleToBpe: accumulate d0 lower and *= bpe into Cin addr
v_cndmask_b32 v22, -1, v22, s[56:57]               // LDD clip if OOB. offset
/* (d1,vc1,d0,vc0)=(7,0,4,0) */
s_mov_b32 s52, 128                                 // coordOffset0 d0=4 vc0=0
_v_add_co_u32 v10, vcc, v0, s52                    // coord0.2: coord0 += d0*sg0*VW + vc0
v_cmp_lt_u32 s[52:53], v10, s[sgprSizeI]           // coord0 < size0
v_cmp_lt_u32 s[56:57], v1, s[sgprSizeJ]            // coord1 < size1
s_and_b64 s[56:57], s[52:53], s[56:57]             // in0 && in1
_v_add_lshl_u32 v23, v2, v10, 0x2                  // scaleToBpe: accumulate d0 lower and *= bpe into Cin addr
v_cndmask_b32 v23, -1, v23, s[56:57]               // LDC clip if OOB. offset
_buffer_load_b128 v[56:59], v23, s[sgprSrdC:sgprSrdC+3], 0, offen offset:0 // load C for beta calc
_v_add_lshl_u32 v23, v3, v10, 0x2                  // scaleToBpe: accumulate d0 lower and *= bpe into Cin addr
v_cndmask_b32 v23, -1, v23, s[56:57]               // LDD clip if OOB. offset
/* (d1,vc1,d0,vc0)=(7,0,5,0) */
s_mov_b32 s52, 136                                 // coordOffset0 d0=5 vc0=0
_v_add_co_u32 v10, vcc, v0, s52                    // coord0.2: coord0 += d0*sg0*VW + vc0
	;; [unrolled: 11-line block ×4, first 2 shown]
v_cmp_lt_u32 s[52:53], v10, s[sgprSizeI]           // coord0 < size0
v_cmp_lt_u32 s[56:57], v1, s[sgprSizeJ]            // coord1 < size1
s_and_b64 s[56:57], s[52:53], s[56:57]             // in0 && in1
_v_add_lshl_u32 v49, v2, v10, 0x2                  // scaleToBpe: accumulate d0 lower and *= bpe into Cin addr
v_cndmask_b32 v49, -1, v49, s[56:57]               // LDC clip if OOB. offset
_buffer_load_b128 v[80:83], v49, s[sgprSrdC:sgprSrdC+3], 0, offen offset:0 // load C for beta calc
_v_add_lshl_u32 v49, v3, v10, 0x2                  // scaleToBpe: accumulate d0 lower and *= bpe into Cin addr
v_cndmask_b32 v49, -1, v49, s[56:57]               // LDD clip if OOB. offset
v_accvgpr_read_b32 v[vgprValuC+16], acc224 // copy acc to vreg[224]
v_accvgpr_read_b32 v[vgprValuC+17], acc225 // copy acc to vreg[225]
v_accvgpr_read_b32 v[vgprValuC+18], acc226 // copy acc to vreg[226]
v_accvgpr_read_b32 v[vgprValuC+19], acc227 // copy acc to vreg[227]
v_accvgpr_read_b32 v[vgprValuC+28], acc228 // copy acc to vreg[228]
v_accvgpr_read_b32 v[vgprValuC+29], acc229 // copy acc to vreg[229]
v_accvgpr_read_b32 v[vgprValuC+30], acc230 // copy acc to vreg[230]
v_accvgpr_read_b32 v[vgprValuC+31], acc231 // copy acc to vreg[231]
v_accvgpr_read_b32 v[vgprValuC+36], acc232 // copy acc to vreg[232]
v_accvgpr_read_b32 v[vgprValuC+37], acc233 // copy acc to vreg[233]
v_accvgpr_read_b32 v[vgprValuC+38], acc234 // copy acc to vreg[234]
v_accvgpr_read_b32 v[vgprValuC+39], acc235 // copy acc to vreg[235]
v_accvgpr_read_b32 v[vgprValuC+52], acc236 // copy acc to vreg[236]
v_accvgpr_read_b32 v[vgprValuC+53], acc237 // copy acc to vreg[237]
v_accvgpr_read_b32 v[vgprValuC+54], acc238 // copy acc to vreg[238]
v_accvgpr_read_b32 v[vgprValuC+55], acc239 // copy acc to vreg[239]
v_accvgpr_read_b32 v[vgprValuC+60], acc240 // copy acc to vreg[240]
v_accvgpr_read_b32 v[vgprValuC+61], acc241 // copy acc to vreg[241]
v_accvgpr_read_b32 v[vgprValuC+62], acc242 // copy acc to vreg[242]
v_accvgpr_read_b32 v[vgprValuC+63], acc243 // copy acc to vreg[243]
v_accvgpr_read_b32 v[vgprValuC+68], acc244 // copy acc to vreg[244]
v_accvgpr_read_b32 v[vgprValuC+69], acc245 // copy acc to vreg[245]
v_accvgpr_read_b32 v[vgprValuC+70], acc246 // copy acc to vreg[246]
v_accvgpr_read_b32 v[vgprValuC+71], acc247 // copy acc to vreg[247]
v_accvgpr_read_b32 v[vgprValuC+76], acc248 // copy acc to vreg[248]
v_accvgpr_read_b32 v[vgprValuC+77], acc249 // copy acc to vreg[249]
v_accvgpr_read_b32 v[vgprValuC+78], acc250 // copy acc to vreg[250]
v_accvgpr_read_b32 v[vgprValuC+79], acc251 // copy acc to vreg[251]
v_accvgpr_read_b32 v[vgprValuC+84], acc252 // copy acc to vreg[252]
v_accvgpr_read_b32 v[vgprValuC+85], acc253 // copy acc to vreg[253]
v_accvgpr_read_b32 v[vgprValuC+86], acc254 // copy acc to vreg[254]
v_accvgpr_read_b32 v[vgprValuC+87], acc255 // copy acc to vreg[255]
s_nop 1                                            // 2 wait states required before reading vgpr

/* rC *= alpha batchElements=[(7, 0, 0, 0), (7, 1, 0, 0), (7, 2, 0, 0), (7, 3, 0, 0), (7, 4, 0, 0), (7, 5, 0, 0), (7, 6, 0, 0), (7, 7, 0, 0)] */
v_mul_lo_u32 v[vgprValuC+16], s[sgprAlpha], v[vgprValuC+16] // *= alpha
v_mul_lo_u32 v[vgprValuC+17], s[sgprAlpha], v[vgprValuC+17] // *= alpha
	;; [unrolled: 1-line block ×32, first 2 shown]
s_waitcnt vmcnt(0)                                 // wait C

/* apply mask, calc new C and issue writes */

/* StoreRemap: shift coord1 address */
s_mul_i32 s52, s[sgprStrideD1J], 128               // scale StrideD *= numRows(32) * bpe
s_add_u32  s[sgprSrdD+0], s[sgprSrdD+0], s52       // incToNextRow: gra SRD += inc(lower)
s_addc_u32  s[sgprSrdD+1], s[sgprSrdD+1], 0        // incToNextRow: gra SRD += inc(upper)
v_mov_b32 v10, 32                                  // set shift rows
_v_add_u32 v5, v5, v10                             // shift storeRemap coord1
v_mul_lo_u32 v12, s[sgprBeta], v12                 // C = C*beta
_v_add_u32 v[vgprValuC+16], v12, v[vgprValuC+16]   // finalSum = sum*alpha + C*beta
v_mul_lo_u32 v13, s[sgprBeta], v13                 // C = C*beta
_v_add_u32 v[vgprValuC+17], v13, v[vgprValuC+17]   // finalSum = sum*alpha + C*beta
	;; [unrolled: 2-line block ×4, first 2 shown]
_ds_store_b128 v7, v[16:19], offset:0              // storeRemap lw
v_mul_lo_u32 v24, s[sgprBeta], v24                 // C = C*beta
_v_add_u32 v[vgprValuC+28], v24, v[vgprValuC+28]   // finalSum = sum*alpha + C*beta
v_mul_lo_u32 v25, s[sgprBeta], v25                 // C = C*beta
_v_add_u32 v[vgprValuC+29], v25, v[vgprValuC+29]   // finalSum = sum*alpha + C*beta
v_mul_lo_u32 v26, s[sgprBeta], v26                 // C = C*beta
_v_add_u32 v[vgprValuC+30], v26, v[vgprValuC+30]   // finalSum = sum*alpha + C*beta
v_mul_lo_u32 v27, s[sgprBeta], v27                 // C = C*beta
_v_add_u32 v[vgprValuC+31], v27, v[vgprValuC+31]   // finalSum = sum*alpha + C*beta
_ds_store_b128 v7, v[28:31], offset:32             // storeRemap lw
v_mul_lo_u32 v32, s[sgprBeta], v32                 // C = C*beta
_v_add_u32 v[vgprValuC+36], v32, v[vgprValuC+36]   // finalSum = sum*alpha + C*beta
v_mul_lo_u32 v33, s[sgprBeta], v33                 // C = C*beta
_v_add_u32 v[vgprValuC+37], v33, v[vgprValuC+37]   // finalSum = sum*alpha + C*beta
v_mul_lo_u32 v34, s[sgprBeta], v34                 // C = C*beta
_v_add_u32 v[vgprValuC+38], v34, v[vgprValuC+38]   // finalSum = sum*alpha + C*beta
v_mul_lo_u32 v35, s[sgprBeta], v35                 // C = C*beta
_v_add_u32 v[vgprValuC+39], v35, v[vgprValuC+39]   // finalSum = sum*alpha + C*beta
_ds_store_b128 v7, v[36:39], offset:64             // storeRemap lw
	;; [unrolled: 9-line block ×3, first 2 shown]
v_mul_lo_u32 v56, s[sgprBeta], v56                 // C = C*beta
_v_add_u32 v[vgprValuC+60], v56, v[vgprValuC+60]   // finalSum = sum*alpha + C*beta
v_mul_lo_u32 v57, s[sgprBeta], v57                 // C = C*beta
_v_add_u32 v[vgprValuC+61], v57, v[vgprValuC+61]   // finalSum = sum*alpha + C*beta
v_mul_lo_u32 v58, s[sgprBeta], v58                 // C = C*beta
_v_add_u32 v[vgprValuC+62], v58, v[vgprValuC+62]   // finalSum = sum*alpha + C*beta
v_mul_lo_u32 v59, s[sgprBeta], v59                 // C = C*beta
_v_add_u32 v[vgprValuC+63], v59, v[vgprValuC+63]   // finalSum = sum*alpha + C*beta
_ds_store_b128 v7, v[60:63], offset:512            // storeRemap lw
v_mul_lo_u32 v64, s[sgprBeta], v64                 // C = C*beta
_v_add_u32 v[vgprValuC+68], v64, v[vgprValuC+68]   // finalSum = sum*alpha + C*beta
v_mul_lo_u32 v65, s[sgprBeta], v65                 // C = C*beta
_v_add_u32 v[vgprValuC+69], v65, v[vgprValuC+69]   // finalSum = sum*alpha + C*beta
v_mul_lo_u32 v66, s[sgprBeta], v66                 // C = C*beta
_v_add_u32 v[vgprValuC+70], v66, v[vgprValuC+70]   // finalSum = sum*alpha + C*beta
v_mul_lo_u32 v67, s[sgprBeta], v67                 // C = C*beta
_v_add_u32 v[vgprValuC+71], v67, v[vgprValuC+71]   // finalSum = sum*alpha + C*beta
_ds_store_b128 v7, v[68:71], offset:544            // storeRemap lw
	;; [unrolled: 9-line block ×4, first 2 shown]

/* Handle local read and global write */
s_waitcnt lgkmcnt(0)                               // wait for LDS write
s_barrier //wait all lds write finished

_ds_load_b128 v[12:15], v8, offset:0               // storeRemap lr
_ds_load_b128 v[16:19], v8, offset:1040            // storeRemap lr
_ds_load_b128 v[20:23], v8, offset:2080            // storeRemap lr
	;; [unrolled: 1-line block ×7, first 2 shown]

s_waitcnt lgkmcnt(7)                               // wait for LDS read
_v_add_u32 v11, v5, 0                              // coord1 += nColPerLoad
_v_add_u32 v10, v4, 0                              // coord0 += element index of load vector
_v_add_u32 v9, v6, 0                               // offset coord1 += nColPerLoad
v_cmp_lt_u32 s[52:53], v10, s[sgprSizeI]           // coord0 < size0
v_cmp_lt_u32 s[54:55], v11, s[sgprSizeJ]           // coord1 < size1
s_and_b64 s[54:55], s[52:53], s[54:55]             // in0 && in1
v_mul_lo_u32 v9, v9, s[sgprStrideD1J]              // coord1 element offset =  coord1 * StrideD
_v_add_lshl_u32 v9, v9, v10, 0x2                   // scale to BPE
v_cndmask_b32 v9, -1, v9, s[54:55]                 // clip if OOB. offset
_buffer_store_b128 v[12:15], v9, s[sgprSrdD:sgprSrdD+3], 0, offen, offset:0 // store D
s_waitcnt lgkmcnt(6)                               // wait for LDS read
_v_add_u32 v11, v5, 1                              // coord1 += nColPerLoad
_v_add_u32 v10, v4, 0                              // coord0 += element index of load vector
_v_add_u32 v9, v6, 1                               // offset coord1 += nColPerLoad
v_cmp_lt_u32 s[52:53], v10, s[sgprSizeI]           // coord0 < size0
v_cmp_lt_u32 s[54:55], v11, s[sgprSizeJ]           // coord1 < size1
s_and_b64 s[54:55], s[52:53], s[54:55]             // in0 && in1
v_mul_lo_u32 v9, v9, s[sgprStrideD1J]              // coord1 element offset =  coord1 * StrideD
_v_add_lshl_u32 v9, v9, v10, 0x2                   // scale to BPE
v_cndmask_b32 v9, -1, v9, s[54:55]                 // clip if OOB. offset
_buffer_store_b128 v[16:19], v9, s[sgprSrdD:sgprSrdD+3], 0, offen, offset:0 // store D
	;; [unrolled: 11-line block ×8, first 2 shown]

s_barrier //wait all lds read finished
s_nop 0                                            // 1 wait state required when next inst writes vgprs held by previous dwordx4 store inst
s_branch label_GW_End_178                          // jump to end
label_GW_End_178:

label_0183:  /// KernelEnd
s_endpgm                                           // Kernel End

